;; amdgpu-corpus repo=ROCm/rocFFT kind=compiled arch=gfx906 opt=O3
	.text
	.amdgcn_target "amdgcn-amd-amdhsa--gfx906"
	.amdhsa_code_object_version 6
	.protected	fft_rtc_fwd_len2700_factors_3_10_10_3_3_wgs_90_tpt_90_halfLds_half_op_CI_CI_unitstride_sbrr_dirReg ; -- Begin function fft_rtc_fwd_len2700_factors_3_10_10_3_3_wgs_90_tpt_90_halfLds_half_op_CI_CI_unitstride_sbrr_dirReg
	.globl	fft_rtc_fwd_len2700_factors_3_10_10_3_3_wgs_90_tpt_90_halfLds_half_op_CI_CI_unitstride_sbrr_dirReg
	.p2align	8
	.type	fft_rtc_fwd_len2700_factors_3_10_10_3_3_wgs_90_tpt_90_halfLds_half_op_CI_CI_unitstride_sbrr_dirReg,@function
fft_rtc_fwd_len2700_factors_3_10_10_3_3_wgs_90_tpt_90_halfLds_half_op_CI_CI_unitstride_sbrr_dirReg: ; @fft_rtc_fwd_len2700_factors_3_10_10_3_3_wgs_90_tpt_90_halfLds_half_op_CI_CI_unitstride_sbrr_dirReg
; %bb.0:
	s_load_dwordx4 s[8:11], s[4:5], 0x58
	s_load_dwordx4 s[12:15], s[4:5], 0x0
	;; [unrolled: 1-line block ×3, first 2 shown]
	v_mul_u32_u24_e32 v1, 0x2d9, v0
	v_add_u32_sdwa v5, s6, v1 dst_sel:DWORD dst_unused:UNUSED_PAD src0_sel:DWORD src1_sel:WORD_1
	v_mov_b32_e32 v3, 0
	s_waitcnt lgkmcnt(0)
	v_cmp_lt_u64_e64 s[0:1], s[14:15], 2
	v_mov_b32_e32 v1, 0
	v_mov_b32_e32 v6, v3
	s_and_b64 vcc, exec, s[0:1]
	v_mov_b32_e32 v2, 0
	s_cbranch_vccnz .LBB0_8
; %bb.1:
	s_load_dwordx2 s[0:1], s[4:5], 0x10
	s_add_u32 s2, s18, 8
	s_addc_u32 s3, s19, 0
	s_add_u32 s6, s16, 8
	v_mov_b32_e32 v1, 0
	s_addc_u32 s7, s17, 0
	v_mov_b32_e32 v2, 0
	s_waitcnt lgkmcnt(0)
	s_add_u32 s20, s0, 8
	v_mov_b32_e32 v21, v2
	s_addc_u32 s21, s1, 0
	s_mov_b64 s[22:23], 1
	v_mov_b32_e32 v20, v1
.LBB0_2:                                ; =>This Inner Loop Header: Depth=1
	s_load_dwordx2 s[24:25], s[20:21], 0x0
                                        ; implicit-def: $vgpr24_vgpr25
	s_waitcnt lgkmcnt(0)
	v_or_b32_e32 v4, s25, v6
	v_cmp_ne_u64_e32 vcc, 0, v[3:4]
	s_and_saveexec_b64 s[0:1], vcc
	s_xor_b64 s[26:27], exec, s[0:1]
	s_cbranch_execz .LBB0_4
; %bb.3:                                ;   in Loop: Header=BB0_2 Depth=1
	v_cvt_f32_u32_e32 v4, s24
	v_cvt_f32_u32_e32 v7, s25
	s_sub_u32 s0, 0, s24
	s_subb_u32 s1, 0, s25
	v_mac_f32_e32 v4, 0x4f800000, v7
	v_rcp_f32_e32 v4, v4
	v_mul_f32_e32 v4, 0x5f7ffffc, v4
	v_mul_f32_e32 v7, 0x2f800000, v4
	v_trunc_f32_e32 v7, v7
	v_mac_f32_e32 v4, 0xcf800000, v7
	v_cvt_u32_f32_e32 v7, v7
	v_cvt_u32_f32_e32 v4, v4
	v_mul_lo_u32 v8, s0, v7
	v_mul_hi_u32 v9, s0, v4
	v_mul_lo_u32 v11, s1, v4
	v_mul_lo_u32 v10, s0, v4
	v_add_u32_e32 v8, v9, v8
	v_add_u32_e32 v8, v8, v11
	v_mul_hi_u32 v9, v4, v10
	v_mul_lo_u32 v11, v4, v8
	v_mul_hi_u32 v13, v4, v8
	v_mul_hi_u32 v12, v7, v10
	v_mul_lo_u32 v10, v7, v10
	v_mul_hi_u32 v14, v7, v8
	v_add_co_u32_e32 v9, vcc, v9, v11
	v_addc_co_u32_e32 v11, vcc, 0, v13, vcc
	v_mul_lo_u32 v8, v7, v8
	v_add_co_u32_e32 v9, vcc, v9, v10
	v_addc_co_u32_e32 v9, vcc, v11, v12, vcc
	v_addc_co_u32_e32 v10, vcc, 0, v14, vcc
	v_add_co_u32_e32 v8, vcc, v9, v8
	v_addc_co_u32_e32 v9, vcc, 0, v10, vcc
	v_add_co_u32_e32 v4, vcc, v4, v8
	v_addc_co_u32_e32 v7, vcc, v7, v9, vcc
	v_mul_lo_u32 v8, s0, v7
	v_mul_hi_u32 v9, s0, v4
	v_mul_lo_u32 v10, s1, v4
	v_mul_lo_u32 v11, s0, v4
	v_add_u32_e32 v8, v9, v8
	v_add_u32_e32 v8, v8, v10
	v_mul_lo_u32 v12, v4, v8
	v_mul_hi_u32 v13, v4, v11
	v_mul_hi_u32 v14, v4, v8
	v_mul_hi_u32 v10, v7, v11
	v_mul_lo_u32 v11, v7, v11
	v_mul_hi_u32 v9, v7, v8
	v_add_co_u32_e32 v12, vcc, v13, v12
	v_addc_co_u32_e32 v13, vcc, 0, v14, vcc
	v_mul_lo_u32 v8, v7, v8
	v_add_co_u32_e32 v11, vcc, v12, v11
	v_addc_co_u32_e32 v10, vcc, v13, v10, vcc
	v_addc_co_u32_e32 v9, vcc, 0, v9, vcc
	v_add_co_u32_e32 v8, vcc, v10, v8
	v_addc_co_u32_e32 v9, vcc, 0, v9, vcc
	v_add_co_u32_e32 v4, vcc, v4, v8
	v_addc_co_u32_e32 v9, vcc, v7, v9, vcc
	v_mad_u64_u32 v[7:8], s[0:1], v5, v9, 0
	v_mul_hi_u32 v10, v5, v4
	v_add_co_u32_e32 v11, vcc, v10, v7
	v_addc_co_u32_e32 v12, vcc, 0, v8, vcc
	v_mad_u64_u32 v[7:8], s[0:1], v6, v4, 0
	v_mad_u64_u32 v[9:10], s[0:1], v6, v9, 0
	v_add_co_u32_e32 v4, vcc, v11, v7
	v_addc_co_u32_e32 v4, vcc, v12, v8, vcc
	v_addc_co_u32_e32 v7, vcc, 0, v10, vcc
	v_add_co_u32_e32 v4, vcc, v4, v9
	v_addc_co_u32_e32 v9, vcc, 0, v7, vcc
	v_mul_lo_u32 v10, s25, v4
	v_mul_lo_u32 v11, s24, v9
	v_mad_u64_u32 v[7:8], s[0:1], s24, v4, 0
	v_add3_u32 v8, v8, v11, v10
	v_sub_u32_e32 v10, v6, v8
	v_mov_b32_e32 v11, s25
	v_sub_co_u32_e32 v7, vcc, v5, v7
	v_subb_co_u32_e64 v10, s[0:1], v10, v11, vcc
	v_subrev_co_u32_e64 v11, s[0:1], s24, v7
	v_subbrev_co_u32_e64 v10, s[0:1], 0, v10, s[0:1]
	v_cmp_le_u32_e64 s[0:1], s25, v10
	v_cndmask_b32_e64 v12, 0, -1, s[0:1]
	v_cmp_le_u32_e64 s[0:1], s24, v11
	v_cndmask_b32_e64 v11, 0, -1, s[0:1]
	v_cmp_eq_u32_e64 s[0:1], s25, v10
	v_cndmask_b32_e64 v10, v12, v11, s[0:1]
	v_add_co_u32_e64 v11, s[0:1], 2, v4
	v_addc_co_u32_e64 v12, s[0:1], 0, v9, s[0:1]
	v_add_co_u32_e64 v13, s[0:1], 1, v4
	v_addc_co_u32_e64 v14, s[0:1], 0, v9, s[0:1]
	v_subb_co_u32_e32 v8, vcc, v6, v8, vcc
	v_cmp_ne_u32_e64 s[0:1], 0, v10
	v_cmp_le_u32_e32 vcc, s25, v8
	v_cndmask_b32_e64 v10, v14, v12, s[0:1]
	v_cndmask_b32_e64 v12, 0, -1, vcc
	v_cmp_le_u32_e32 vcc, s24, v7
	v_cndmask_b32_e64 v7, 0, -1, vcc
	v_cmp_eq_u32_e32 vcc, s25, v8
	v_cndmask_b32_e32 v7, v12, v7, vcc
	v_cmp_ne_u32_e32 vcc, 0, v7
	v_cndmask_b32_e64 v7, v13, v11, s[0:1]
	v_cndmask_b32_e32 v25, v9, v10, vcc
	v_cndmask_b32_e32 v24, v4, v7, vcc
.LBB0_4:                                ;   in Loop: Header=BB0_2 Depth=1
	s_andn2_saveexec_b64 s[0:1], s[26:27]
	s_cbranch_execz .LBB0_6
; %bb.5:                                ;   in Loop: Header=BB0_2 Depth=1
	v_cvt_f32_u32_e32 v4, s24
	s_sub_i32 s26, 0, s24
	v_mov_b32_e32 v25, v3
	v_rcp_iflag_f32_e32 v4, v4
	v_mul_f32_e32 v4, 0x4f7ffffe, v4
	v_cvt_u32_f32_e32 v4, v4
	v_mul_lo_u32 v7, s26, v4
	v_mul_hi_u32 v7, v4, v7
	v_add_u32_e32 v4, v4, v7
	v_mul_hi_u32 v4, v5, v4
	v_mul_lo_u32 v7, v4, s24
	v_add_u32_e32 v8, 1, v4
	v_sub_u32_e32 v7, v5, v7
	v_subrev_u32_e32 v9, s24, v7
	v_cmp_le_u32_e32 vcc, s24, v7
	v_cndmask_b32_e32 v7, v7, v9, vcc
	v_cndmask_b32_e32 v4, v4, v8, vcc
	v_add_u32_e32 v8, 1, v4
	v_cmp_le_u32_e32 vcc, s24, v7
	v_cndmask_b32_e32 v24, v4, v8, vcc
.LBB0_6:                                ;   in Loop: Header=BB0_2 Depth=1
	s_or_b64 exec, exec, s[0:1]
	v_mul_lo_u32 v4, v25, s24
	v_mul_lo_u32 v9, v24, s25
	v_mad_u64_u32 v[7:8], s[0:1], v24, s24, 0
	s_load_dwordx2 s[0:1], s[6:7], 0x0
	s_load_dwordx2 s[24:25], s[2:3], 0x0
	v_add3_u32 v4, v8, v9, v4
	v_sub_co_u32_e32 v5, vcc, v5, v7
	v_subb_co_u32_e32 v4, vcc, v6, v4, vcc
	s_waitcnt lgkmcnt(0)
	v_mul_lo_u32 v6, s0, v4
	v_mul_lo_u32 v7, s1, v5
	v_mad_u64_u32 v[1:2], s[0:1], s0, v5, v[1:2]
	v_mul_lo_u32 v4, s24, v4
	v_mul_lo_u32 v8, s25, v5
	v_mad_u64_u32 v[20:21], s[0:1], s24, v5, v[20:21]
	s_add_u32 s22, s22, 1
	s_addc_u32 s23, s23, 0
	s_add_u32 s2, s2, 8
	v_add3_u32 v21, v8, v21, v4
	s_addc_u32 s3, s3, 0
	v_mov_b32_e32 v4, s14
	s_add_u32 s6, s6, 8
	v_mov_b32_e32 v5, s15
	s_addc_u32 s7, s7, 0
	v_cmp_ge_u64_e32 vcc, s[22:23], v[4:5]
	s_add_u32 s20, s20, 8
	v_add3_u32 v2, v7, v2, v6
	s_addc_u32 s21, s21, 0
	s_cbranch_vccnz .LBB0_9
; %bb.7:                                ;   in Loop: Header=BB0_2 Depth=1
	v_mov_b32_e32 v5, v24
	v_mov_b32_e32 v6, v25
	s_branch .LBB0_2
.LBB0_8:
	v_mov_b32_e32 v21, v2
	v_mov_b32_e32 v25, v6
	;; [unrolled: 1-line block ×4, first 2 shown]
.LBB0_9:
	s_load_dwordx2 s[0:1], s[4:5], 0x28
	s_lshl_b64 s[6:7], s[14:15], 3
	s_add_u32 s2, s18, s6
	s_addc_u32 s3, s19, s7
                                        ; implicit-def: $vgpr30
	s_waitcnt lgkmcnt(0)
	v_cmp_gt_u64_e32 vcc, s[0:1], v[24:25]
	v_cmp_le_u64_e64 s[0:1], s[0:1], v[24:25]
	s_and_saveexec_b64 s[4:5], s[0:1]
	s_xor_b64 s[0:1], exec, s[4:5]
; %bb.10:
	s_mov_b32 s4, 0x2d82d83
	v_mul_hi_u32 v1, v0, s4
	v_mul_u32_u24_e32 v1, 0x5a, v1
	v_sub_u32_e32 v30, v0, v1
                                        ; implicit-def: $vgpr0
                                        ; implicit-def: $vgpr1_vgpr2
; %bb.11:
	s_or_saveexec_b64 s[4:5], s[0:1]
                                        ; implicit-def: $vgpr17
                                        ; implicit-def: $vgpr4
                                        ; implicit-def: $vgpr18
                                        ; implicit-def: $vgpr3
                                        ; implicit-def: $vgpr19
                                        ; implicit-def: $vgpr6
                                        ; implicit-def: $vgpr32
                                        ; implicit-def: $vgpr8
                                        ; implicit-def: $vgpr33
                                        ; implicit-def: $vgpr7
                                        ; implicit-def: $vgpr22
                                        ; implicit-def: $vgpr5
                                        ; implicit-def: $vgpr41
                                        ; implicit-def: $vgpr11
                                        ; implicit-def: $vgpr42
                                        ; implicit-def: $vgpr12
                                        ; implicit-def: $vgpr36
                                        ; implicit-def: $vgpr9
                                        ; implicit-def: $vgpr47
                                        ; implicit-def: $vgpr23
                                        ; implicit-def: $vgpr48
                                        ; implicit-def: $vgpr26
                                        ; implicit-def: $vgpr45
                                        ; implicit-def: $vgpr10
                                        ; implicit-def: $vgpr51
                                        ; implicit-def: $vgpr35
                                        ; implicit-def: $vgpr52
                                        ; implicit-def: $vgpr37
                                        ; implicit-def: $vgpr50
                                        ; implicit-def: $vgpr13
                                        ; implicit-def: $vgpr54
                                        ; implicit-def: $vgpr43
                                        ; implicit-def: $vgpr55
                                        ; implicit-def: $vgpr44
                                        ; implicit-def: $vgpr53
                                        ; implicit-def: $vgpr15
                                        ; implicit-def: $vgpr57
                                        ; implicit-def: $vgpr49
                                        ; implicit-def: $vgpr58
                                        ; implicit-def: $vgpr14
                                        ; implicit-def: $vgpr56
                                        ; implicit-def: $vgpr27
                                        ; implicit-def: $vgpr60
                                        ; implicit-def: $vgpr16
                                        ; implicit-def: $vgpr61
                                        ; implicit-def: $vgpr28
                                        ; implicit-def: $vgpr59
                                        ; implicit-def: $vgpr38
                                        ; implicit-def: $vgpr64
                                        ; implicit-def: $vgpr29
                                        ; implicit-def: $vgpr62
                                        ; implicit-def: $vgpr39
                                        ; implicit-def: $vgpr63
                                        ; implicit-def: $vgpr31
                                        ; implicit-def: $vgpr67
                                        ; implicit-def: $vgpr34
                                        ; implicit-def: $vgpr65
                                        ; implicit-def: $vgpr46
                                        ; implicit-def: $vgpr66
                                        ; implicit-def: $vgpr40
	s_xor_b64 exec, exec, s[4:5]
	s_cbranch_execz .LBB0_13
; %bb.12:
	s_add_u32 s0, s16, s6
	s_addc_u32 s1, s17, s7
	s_load_dwordx2 s[0:1], s[0:1], 0x0
	s_mov_b32 s6, 0x2d82d83
	v_mul_hi_u32 v5, v0, s6
	s_waitcnt lgkmcnt(0)
	v_mul_lo_u32 v6, s1, v24
	v_mul_lo_u32 v7, s0, v25
	v_mad_u64_u32 v[3:4], s[0:1], s0, v24, 0
	v_mul_u32_u24_e32 v5, 0x5a, v5
	v_sub_u32_e32 v30, v0, v5
	v_add3_u32 v4, v4, v7, v6
	v_lshlrev_b64 v[3:4], 2, v[3:4]
	v_mov_b32_e32 v0, s9
	v_add_co_u32_e64 v3, s[0:1], s8, v3
	v_addc_co_u32_e64 v4, s[0:1], v0, v4, s[0:1]
	v_lshlrev_b64 v[0:1], 2, v[1:2]
	v_lshlrev_b32_e32 v2, 2, v30
	v_add_co_u32_e64 v0, s[0:1], v3, v0
	v_addc_co_u32_e64 v1, s[0:1], v4, v1, s[0:1]
	v_add_co_u32_e64 v0, s[0:1], v0, v2
	v_addc_co_u32_e64 v1, s[0:1], 0, v1, s[0:1]
	s_movk_i32 s0, 0x1000
	v_add_co_u32_e64 v17, s[0:1], s0, v0
	v_addc_co_u32_e64 v18, s[0:1], 0, v1, s[0:1]
	s_movk_i32 s0, 0x2000
	v_add_co_u32_e64 v32, s[0:1], s0, v0
	v_addc_co_u32_e64 v33, s[0:1], 0, v1, s[0:1]
	global_load_dword v40, v[0:1], off
	global_load_dword v31, v[0:1], off offset:360
	global_load_dword v34, v[17:18], off offset:3104
	;; [unrolled: 1-line block ×29, first 2 shown]
	s_waitcnt vmcnt(29)
	v_lshrrev_b32_e32 v66, 16, v40
	s_waitcnt vmcnt(28)
	v_lshrrev_b32_e32 v63, 16, v31
	;; [unrolled: 2-line block ×30, first 2 shown]
.LBB0_13:
	s_or_b64 exec, exec, s[4:5]
	v_add_f16_e32 v1, v34, v46
	v_fma_f16 v1, v1, -0.5, v40
	v_sub_f16_e32 v2, v65, v67
	s_movk_i32 s4, 0x3aee
	s_mov_b32 s5, 0xbaee
	v_add_f16_e32 v0, v46, v40
	v_fma_f16 v40, v2, s4, v1
	v_fma_f16 v1, v2, s5, v1
	v_add_f16_e32 v2, v65, v66
	v_add_f16_e32 v65, v67, v65
	;; [unrolled: 1-line block ×3, first 2 shown]
	v_fma_f16 v65, v65, -0.5, v66
	v_sub_f16_e32 v34, v46, v34
	v_add_f16_e32 v46, v29, v39
	v_add_f16_e32 v2, v67, v2
	v_fma_f16 v66, v34, s5, v65
	v_fma_f16 v67, v34, s4, v65
	v_add_f16_e32 v34, v39, v31
	v_fma_f16 v31, v46, -0.5, v31
	v_sub_f16_e32 v46, v62, v64
	v_fma_f16 v65, v46, s4, v31
	v_fma_f16 v31, v46, s5, v31
	v_add_f16_e32 v46, v62, v63
	v_add_f16_e32 v68, v64, v46
	;; [unrolled: 1-line block ×4, first 2 shown]
	v_fma_f16 v46, v46, -0.5, v63
	v_sub_f16_e32 v29, v39, v29
	v_fma_f16 v69, v29, s5, v46
	v_fma_f16 v29, v29, s4, v46
	v_add_f16_e32 v46, v16, v28
	v_add_f16_e32 v39, v28, v38
	v_fma_f16 v38, v46, -0.5, v38
	v_sub_f16_e32 v46, v61, v60
	v_fma_f16 v62, v46, s4, v38
	v_fma_f16 v38, v46, s5, v38
	v_add_f16_e32 v46, v61, v59
	v_add_f16_e32 v70, v60, v46
	;; [unrolled: 1-line block ×4, first 2 shown]
	v_fma_f16 v46, v46, -0.5, v59
	v_sub_f16_e32 v16, v28, v16
	v_add_f16_e32 v59, v49, v14
	v_fma_f16 v28, v16, s5, v46
	v_fma_f16 v16, v16, s4, v46
	v_add_f16_e32 v46, v14, v27
	v_fma_f16 v27, v59, -0.5, v27
	v_sub_f16_e32 v59, v58, v57
	v_fma_f16 v60, v59, s4, v27
	v_fma_f16 v27, v59, s5, v27
	v_add_f16_e32 v59, v58, v56
	v_add_f16_e32 v71, v57, v59
	v_add_f16_e32 v57, v57, v58
	v_fma_f16 v56, v57, -0.5, v56
	v_sub_f16_e32 v14, v14, v49
	v_fma_f16 v72, v14, s5, v56
	v_fma_f16 v14, v14, s4, v56
	v_add_f16_e32 v56, v43, v44
	v_add_f16_e32 v46, v49, v46
	;; [unrolled: 7-line block ×3, first 2 shown]
	v_add_f16_e32 v54, v54, v55
	v_add_f16_e32 v49, v43, v49
	v_fma_f16 v53, v54, -0.5, v53
	v_sub_f16_e32 v43, v44, v43
	v_add_f16_e32 v44, v35, v37
	v_fma_f16 v74, v43, s5, v53
	v_fma_f16 v75, v43, s4, v53
	v_add_f16_e32 v43, v37, v13
	v_fma_f16 v13, v44, -0.5, v13
	v_sub_f16_e32 v44, v52, v51
	v_fma_f16 v53, v44, s4, v13
	v_fma_f16 v13, v44, s5, v13
	v_add_f16_e32 v44, v52, v50
	v_add_f16_e32 v76, v51, v44
	;; [unrolled: 1-line block ×4, first 2 shown]
	v_fma_f16 v44, v44, -0.5, v50
	v_sub_f16_e32 v35, v37, v35
	v_fma_f16 v37, v35, s5, v44
	v_fma_f16 v77, v35, s4, v44
	v_add_f16_e32 v44, v23, v26
	v_add_f16_e32 v35, v26, v10
	v_fma_f16 v10, v44, -0.5, v10
	v_sub_f16_e32 v44, v48, v47
	v_fma_f16 v50, v44, s4, v10
	v_fma_f16 v10, v44, s5, v10
	v_add_f16_e32 v44, v48, v45
	v_add_f16_e32 v78, v47, v44
	;; [unrolled: 1-line block ×4, first 2 shown]
	v_fma_f16 v44, v44, -0.5, v45
	v_sub_f16_e32 v23, v26, v23
	v_add_f16_e32 v45, v11, v12
	v_fma_f16 v26, v23, s5, v44
	v_fma_f16 v23, v23, s4, v44
	v_add_f16_e32 v44, v12, v9
	v_fma_f16 v9, v45, -0.5, v9
	v_sub_f16_e32 v45, v42, v41
	v_fma_f16 v47, v45, s4, v9
	v_fma_f16 v9, v45, s5, v9
	v_add_f16_e32 v45, v42, v36
	v_add_f16_e32 v79, v41, v45
	v_add_f16_e32 v41, v41, v42
	v_add_f16_e32 v44, v11, v44
	v_fma_f16 v36, v41, -0.5, v36
	v_sub_f16_e32 v11, v12, v11
	v_add_f16_e32 v41, v8, v7
	v_fma_f16 v12, v11, s5, v36
	v_fma_f16 v11, v11, s4, v36
	v_add_f16_e32 v36, v7, v5
	v_fma_f16 v5, v41, -0.5, v5
	v_sub_f16_e32 v41, v33, v32
	v_fma_f16 v42, v41, s4, v5
	v_fma_f16 v5, v41, s5, v5
	v_add_f16_e32 v41, v33, v22
	v_add_f16_e32 v80, v32, v41
	v_add_f16_e32 v32, v32, v33
	v_fma_f16 v22, v32, -0.5, v22
	v_sub_f16_e32 v7, v7, v8
	v_add_f16_e32 v32, v4, v3
	v_add_f16_e32 v36, v8, v36
	v_fma_f16 v8, v7, s5, v22
	v_fma_f16 v7, v7, s4, v22
	v_add_f16_e32 v22, v3, v6
	v_fma_f16 v6, v32, -0.5, v6
	v_sub_f16_e32 v32, v18, v17
	v_fma_f16 v33, v32, s4, v6
	v_fma_f16 v6, v32, s5, v6
	v_add_f16_e32 v32, v18, v19
	v_add_f16_e32 v32, v17, v32
	;; [unrolled: 1-line block ×3, first 2 shown]
	v_fma_f16 v17, v17, -0.5, v19
	v_sub_f16_e32 v3, v3, v4
	v_add_f16_e32 v22, v4, v22
	v_fma_f16 v4, v3, s5, v17
	v_fma_f16 v3, v3, s4, v17
	v_mad_u32_u24 v17, v30, 6, 0
	s_load_dwordx2 s[2:3], s[2:3], 0x0
	ds_write_b16 v17, v0
	ds_write_b16 v17, v40 offset:2
	ds_write_b16 v17, v1 offset:4
	;; [unrolled: 1-line block ×29, first 2 shown]
	v_lshlrev_b32_e32 v22, 1, v30
	s_movk_i32 s0, 0xab
	v_add_u32_e32 v31, 0, v22
	v_mul_lo_u16_sdwa v0, v30, s0 dst_sel:DWORD dst_unused:UNUSED_PAD src0_sel:BYTE_0 src1_sel:DWORD
	s_waitcnt lgkmcnt(0)
	s_barrier
	ds_read_u16 v38, v31
	ds_read_u16 v35, v31 offset:180
	ds_read_u16 v49, v31 offset:2880
	;; [unrolled: 1-line block ×29, first 2 shown]
	s_waitcnt lgkmcnt(0)
	s_barrier
	ds_write_b16 v17, v2
	ds_write_b16 v17, v66 offset:2
	ds_write_b16 v17, v67 offset:4
	;; [unrolled: 1-line block ×29, first 2 shown]
	v_lshrrev_b16_e32 v28, 9, v0
	v_mul_lo_u16_e32 v0, 3, v28
	v_sub_u16_e32 v29, v30, v0
	v_mov_b32_e32 v23, 9
	v_mul_u32_u24_sdwa v0, v29, v23 dst_sel:DWORD dst_unused:UNUSED_PAD src0_sel:BYTE_0 src1_sel:DWORD
	v_lshlrev_b32_e32 v66, 2, v0
	s_waitcnt lgkmcnt(0)
	s_barrier
	global_load_dwordx4 v[4:7], v66, s[12:13]
	global_load_dwordx4 v[0:3], v66, s[12:13] offset:16
	v_add_u32_e32 v26, 0x5a, v30
	v_mul_lo_u16_sdwa v8, v26, s0 dst_sel:DWORD dst_unused:UNUSED_PAD src0_sel:BYTE_0 src1_sel:DWORD
	v_lshrrev_b16_e32 v32, 9, v8
	v_mul_lo_u16_e32 v8, 3, v32
	v_sub_u16_e32 v33, v26, v8
	v_mul_u32_u24_sdwa v8, v33, v23 dst_sel:DWORD dst_unused:UNUSED_PAD src0_sel:BYTE_0 src1_sel:DWORD
	v_lshlrev_b32_e32 v67, 2, v8
	global_load_dwordx4 v[8:11], v67, s[12:13]
	global_load_dwordx4 v[12:15], v67, s[12:13] offset:16
	ds_read_u16 v68, v31 offset:1260
	ds_read_u16 v71, v31 offset:1080
	;; [unrolled: 1-line block ×5, first 2 shown]
	v_add_u32_e32 v27, 0xb4, v30
	s_mov_b32 s0, 0xaaab
	v_mul_u32_u24_sdwa v16, v27, s0 dst_sel:DWORD dst_unused:UNUSED_PAD src0_sel:WORD_0 src1_sel:DWORD
	v_lshrrev_b32_e32 v36, 17, v16
	v_mul_lo_u16_e32 v16, 3, v36
	v_sub_u16_e32 v37, v27, v16
	v_mul_u32_u24_e32 v16, 9, v37
	v_lshlrev_b32_e32 v72, 2, v16
	global_load_dwordx4 v[16:19], v72, s[12:13]
	ds_read_u16 v74, v31
	ds_read_u16 v75, v31 offset:180
	ds_read_u16 v76, v31 offset:360
	s_movk_i32 s6, 0x3b9c
	s_mov_b32 s7, 0xbb9c
	s_movk_i32 s0, 0x38b4
	s_mov_b32 s1, 0xb8b4
	s_movk_i32 s8, 0x34f2
	s_movk_i32 s9, 0x3a79
	v_mul_u32_u24_e32 v32, 60, v32
	s_movk_i32 s14, 0x89
	s_waitcnt vmcnt(4) lgkmcnt(3)
	v_mul_f16_sdwa v77, v73, v4 dst_sel:DWORD dst_unused:UNUSED_PAD src0_sel:DWORD src1_sel:WORD_1
	v_fma_f16 v77, v65, v4, -v77
	v_mul_f16_sdwa v65, v65, v4 dst_sel:DWORD dst_unused:UNUSED_PAD src0_sel:DWORD src1_sel:WORD_1
	v_fma_f16 v65, v73, v4, v65
	v_mul_f16_sdwa v4, v71, v5 dst_sel:DWORD dst_unused:UNUSED_PAD src0_sel:DWORD src1_sel:WORD_1
	v_fma_f16 v73, v63, v5, -v4
	v_mul_f16_sdwa v4, v63, v5 dst_sel:DWORD dst_unused:UNUSED_PAD src0_sel:DWORD src1_sel:WORD_1
	v_fma_f16 v63, v71, v5, v4
	ds_read_u16 v4, v31 offset:1620
	ds_read_u16 v71, v31 offset:1800
	;; [unrolled: 1-line block ×8, first 2 shown]
	s_waitcnt lgkmcnt(7)
	v_mul_f16_sdwa v83, v4, v6 dst_sel:DWORD dst_unused:UNUSED_PAD src0_sel:DWORD src1_sel:WORD_1
	v_fma_f16 v83, v64, v6, -v83
	v_mul_f16_sdwa v64, v64, v6 dst_sel:DWORD dst_unused:UNUSED_PAD src0_sel:DWORD src1_sel:WORD_1
	v_fma_f16 v64, v4, v6, v64
	s_waitcnt lgkmcnt(2)
	v_mul_f16_sdwa v4, v5, v7 dst_sel:DWORD dst_unused:UNUSED_PAD src0_sel:DWORD src1_sel:WORD_1
	v_fma_f16 v84, v62, v7, -v4
	v_mul_f16_sdwa v4, v62, v7 dst_sel:DWORD dst_unused:UNUSED_PAD src0_sel:DWORD src1_sel:WORD_1
	v_fma_f16 v62, v5, v7, v4
	s_waitcnt vmcnt(3)
	v_mul_f16_sdwa v4, v79, v0 dst_sel:DWORD dst_unused:UNUSED_PAD src0_sel:DWORD src1_sel:WORD_1
	v_fma_f16 v85, v60, v0, -v4
	global_load_dwordx4 v[4:7], v72, s[12:13] offset:16
	v_mul_f16_sdwa v60, v60, v0 dst_sel:DWORD dst_unused:UNUSED_PAD src0_sel:DWORD src1_sel:WORD_1
	v_fma_f16 v0, v79, v0, v60
	ds_read_u16 v60, v31 offset:3240
	ds_read_u16 v79, v31 offset:3420
	;; [unrolled: 1-line block ×8, first 2 shown]
	s_waitcnt lgkmcnt(7)
	v_mul_f16_sdwa v92, v60, v1 dst_sel:DWORD dst_unused:UNUSED_PAD src0_sel:DWORD src1_sel:WORD_1
	v_fma_f16 v92, v61, v1, -v92
	v_mul_f16_sdwa v61, v61, v1 dst_sel:DWORD dst_unused:UNUSED_PAD src0_sel:DWORD src1_sel:WORD_1
	v_fma_f16 v1, v60, v1, v61
	global_load_dword v61, v66, s[12:13] offset:32
	s_waitcnt lgkmcnt(2)
	v_mul_f16_sdwa v60, v89, v2 dst_sel:DWORD dst_unused:UNUSED_PAD src0_sel:DWORD src1_sel:WORD_1
	v_fma_f16 v60, v59, v2, -v60
	v_mul_f16_sdwa v59, v59, v2 dst_sel:DWORD dst_unused:UNUSED_PAD src0_sel:DWORD src1_sel:WORD_1
	v_fma_f16 v2, v89, v2, v59
	global_load_dword v59, v67, s[12:13] offset:32
	global_load_dword v66, v72, s[12:13] offset:32
	ds_read_u16 v67, v31 offset:4320
	ds_read_u16 v72, v31 offset:4500
	;; [unrolled: 1-line block ×6, first 2 shown]
	s_waitcnt lgkmcnt(5)
	v_mul_f16_sdwa v96, v67, v3 dst_sel:DWORD dst_unused:UNUSED_PAD src0_sel:DWORD src1_sel:WORD_1
	v_fma_f16 v96, v55, v3, -v96
	v_mul_f16_sdwa v55, v55, v3 dst_sel:DWORD dst_unused:UNUSED_PAD src0_sel:DWORD src1_sel:WORD_1
	v_fma_f16 v3, v67, v3, v55
	s_waitcnt vmcnt(6)
	v_mul_f16_sdwa v55, v70, v8 dst_sel:DWORD dst_unused:UNUSED_PAD src0_sel:DWORD src1_sel:WORD_1
	v_fma_f16 v55, v56, v8, -v55
	v_mul_f16_sdwa v56, v56, v8 dst_sel:DWORD dst_unused:UNUSED_PAD src0_sel:DWORD src1_sel:WORD_1
	v_fma_f16 v8, v70, v8, v56
	v_mul_f16_sdwa v56, v68, v9 dst_sel:DWORD dst_unused:UNUSED_PAD src0_sel:DWORD src1_sel:WORD_1
	v_fma_f16 v56, v52, v9, -v56
	v_mul_f16_sdwa v52, v52, v9 dst_sel:DWORD dst_unused:UNUSED_PAD src0_sel:DWORD src1_sel:WORD_1
	v_fma_f16 v9, v68, v9, v52
	;; [unrolled: 4-line block ×4, first 2 shown]
	s_waitcnt vmcnt(5)
	v_mul_f16_sdwa v54, v86, v12 dst_sel:DWORD dst_unused:UNUSED_PAD src0_sel:DWORD src1_sel:WORD_1
	v_fma_f16 v54, v49, v12, -v54
	v_mul_f16_sdwa v49, v49, v12 dst_sel:DWORD dst_unused:UNUSED_PAD src0_sel:DWORD src1_sel:WORD_1
	v_fma_f16 v12, v86, v12, v49
	v_mul_f16_sdwa v49, v79, v13 dst_sel:DWORD dst_unused:UNUSED_PAD src0_sel:DWORD src1_sel:WORD_1
	v_fma_f16 v49, v57, v13, -v49
	v_mul_f16_sdwa v57, v57, v13 dst_sel:DWORD dst_unused:UNUSED_PAD src0_sel:DWORD src1_sel:WORD_1
	v_fma_f16 v13, v79, v13, v57
	;; [unrolled: 4-line block ×3, first 2 shown]
	s_waitcnt lgkmcnt(4)
	v_mul_f16_sdwa v53, v72, v15 dst_sel:DWORD dst_unused:UNUSED_PAD src0_sel:DWORD src1_sel:WORD_1
	v_fma_f16 v53, v44, v15, -v53
	v_mul_f16_sdwa v44, v44, v15 dst_sel:DWORD dst_unused:UNUSED_PAD src0_sel:DWORD src1_sel:WORD_1
	v_fma_f16 v15, v72, v15, v44
	s_waitcnt vmcnt(4)
	v_mul_f16_sdwa v44, v69, v16 dst_sel:DWORD dst_unused:UNUSED_PAD src0_sel:DWORD src1_sel:WORD_1
	v_fma_f16 v44, v45, v16, -v44
	v_mul_f16_sdwa v45, v45, v16 dst_sel:DWORD dst_unused:UNUSED_PAD src0_sel:DWORD src1_sel:WORD_1
	v_fma_f16 v16, v69, v16, v45
	v_mul_f16_sdwa v45, v82, v17 dst_sel:DWORD dst_unused:UNUSED_PAD src0_sel:DWORD src1_sel:WORD_1
	v_fma_f16 v45, v51, v17, -v45
	v_mul_f16_sdwa v51, v51, v17 dst_sel:DWORD dst_unused:UNUSED_PAD src0_sel:DWORD src1_sel:WORD_1
	v_fma_f16 v17, v82, v17, v51
	;; [unrolled: 4-line block ×4, first 2 shown]
	v_sub_f16_e32 v67, v73, v84
	v_sub_f16_e32 v68, v96, v92
	v_add_f16_e32 v67, v67, v68
	v_sub_f16_e32 v68, v63, v3
	v_sub_f16_e32 v70, v62, v1
	;; [unrolled: 1-line block ×4, first 2 shown]
	s_waitcnt vmcnt(0) lgkmcnt(0)
	s_barrier
	v_mul_f16_sdwa v42, v91, v4 dst_sel:DWORD dst_unused:UNUSED_PAD src0_sel:DWORD src1_sel:WORD_1
	v_fma_f16 v42, v50, v4, -v42
	v_mul_f16_sdwa v50, v50, v4 dst_sel:DWORD dst_unused:UNUSED_PAD src0_sel:DWORD src1_sel:WORD_1
	v_fma_f16 v4, v91, v4, v50
	v_mul_f16_sdwa v50, v90, v5 dst_sel:DWORD dst_unused:UNUSED_PAD src0_sel:DWORD src1_sel:WORD_1
	v_fma_f16 v50, v46, v5, -v50
	v_mul_f16_sdwa v46, v46, v5 dst_sel:DWORD dst_unused:UNUSED_PAD src0_sel:DWORD src1_sel:WORD_1
	v_fma_f16 v5, v90, v5, v46
	;; [unrolled: 4-line block ×7, first 2 shown]
	v_add_f16_e32 v66, v84, v92
	v_fma_f16 v66, v66, -0.5, v38
	v_fma_f16 v69, v68, s6, v66
	v_fma_f16 v66, v68, s7, v66
	;; [unrolled: 1-line block ×6, first 2 shown]
	v_sub_f16_e32 v67, v84, v73
	v_add_f16_e32 v67, v67, v71
	v_add_f16_e32 v71, v73, v96
	v_fma_f16 v71, v71, -0.5, v38
	v_fma_f16 v72, v70, s7, v71
	v_fma_f16 v70, v70, s6, v71
	;; [unrolled: 1-line block ×6, first 2 shown]
	v_add_f16_e32 v38, v38, v73
	v_sub_f16_e32 v68, v73, v96
	v_sub_f16_e32 v72, v63, v62
	;; [unrolled: 1-line block ×3, first 2 shown]
	v_add_f16_e32 v72, v72, v73
	v_add_f16_e32 v73, v62, v1
	v_fma_f16 v73, v73, -0.5, v74
	v_sub_f16_e32 v71, v84, v92
	v_fma_f16 v78, v68, s7, v73
	v_fma_f16 v73, v68, s6, v73
	;; [unrolled: 1-line block ×6, first 2 shown]
	v_add_f16_e32 v73, v63, v3
	v_fma_f16 v73, v73, -0.5, v74
	v_add_f16_e32 v74, v74, v63
	v_add_f16_e32 v74, v74, v62
	v_sub_f16_e32 v62, v62, v63
	v_add_f16_e32 v63, v74, v1
	v_sub_f16_e32 v1, v1, v3
	v_add_f16_e32 v63, v63, v3
	v_add_f16_e32 v1, v62, v1
	v_fma_f16 v3, v71, s6, v73
	v_fma_f16 v62, v71, s7, v73
	;; [unrolled: 1-line block ×6, first 2 shown]
	v_sub_f16_e32 v62, v83, v85
	v_sub_f16_e32 v68, v47, v60
	v_add_f16_e32 v62, v62, v68
	v_add_f16_e32 v68, v85, v60
	v_fma_f16 v68, v68, -0.5, v77
	v_sub_f16_e32 v71, v64, v43
	v_fma_f16 v73, v71, s6, v68
	v_sub_f16_e32 v74, v0, v2
	v_fma_f16 v68, v71, s7, v68
	v_fma_f16 v73, v74, s0, v73
	;; [unrolled: 1-line block ×5, first 2 shown]
	v_sub_f16_e32 v68, v85, v83
	v_sub_f16_e32 v79, v60, v47
	v_add_f16_e32 v68, v68, v79
	v_add_f16_e32 v79, v83, v47
	v_fma_f16 v79, v79, -0.5, v77
	v_fma_f16 v80, v74, s7, v79
	v_fma_f16 v74, v74, s6, v79
	;; [unrolled: 1-line block ×6, first 2 shown]
	v_add_f16_e32 v71, v77, v83
	v_add_f16_e32 v71, v71, v85
	v_sub_f16_e32 v77, v64, v0
	v_sub_f16_e32 v79, v43, v2
	v_add_f16_e32 v71, v71, v60
	v_add_f16_e32 v77, v77, v79
	;; [unrolled: 1-line block ×4, first 2 shown]
	v_sub_f16_e32 v47, v83, v47
	v_fma_f16 v79, v79, -0.5, v65
	v_sub_f16_e32 v60, v85, v60
	v_fma_f16 v80, v47, s7, v79
	v_fma_f16 v79, v47, s6, v79
	;; [unrolled: 1-line block ×6, first 2 shown]
	v_add_f16_e32 v79, v64, v43
	v_fma_f16 v79, v79, -0.5, v65
	v_add_f16_e32 v65, v65, v64
	v_add_f16_e32 v65, v65, v0
	v_sub_f16_e32 v0, v0, v64
	v_add_f16_e32 v64, v65, v2
	v_sub_f16_e32 v2, v2, v43
	v_add_f16_e32 v64, v64, v43
	v_add_f16_e32 v0, v0, v2
	v_fma_f16 v2, v60, s6, v79
	v_fma_f16 v43, v60, s7, v79
	;; [unrolled: 1-line block ×4, first 2 shown]
	v_mul_f16_e32 v47, 0x38b4, v80
	v_fma_f16 v2, v0, s8, v2
	v_fma_f16 v47, v73, s9, v47
	v_mul_f16_e32 v60, 0xb8b4, v73
	v_mul_f16_e32 v73, 0xbb9c, v74
	v_fma_f16 v0, v0, s8, v43
	v_mul_f16_e32 v65, 0x3b9c, v2
	v_fma_f16 v2, v2, s8, v73
	v_mul_f16_e32 v73, 0x34f2, v68
	v_add_f16_e32 v38, v38, v84
	v_fma_f16 v73, v0, s6, -v73
	v_mul_f16_e32 v0, 0x34f2, v0
	v_add_f16_e32 v38, v38, v92
	v_fma_f16 v65, v74, s8, v65
	v_fma_f16 v0, v68, s7, -v0
	v_mul_f16_e32 v68, 0x3a79, v62
	v_mul_f16_e32 v74, 0x3a79, v77
	v_add_f16_e32 v38, v38, v96
	v_fma_f16 v60, v80, s9, v60
	v_fma_f16 v68, v77, s0, -v68
	v_fma_f16 v62, v62, s1, -v74
	v_add_f16_e32 v43, v38, v71
	v_sub_f16_e32 v38, v38, v71
	v_add_f16_e32 v71, v70, v65
	v_sub_f16_e32 v65, v70, v65
	v_add_f16_e32 v70, v66, v68
	v_sub_f16_e32 v66, v66, v68
	v_add_f16_e32 v68, v78, v60
	v_add_f16_e32 v79, v3, v2
	v_sub_f16_e32 v78, v78, v60
	v_add_f16_e32 v80, v1, v0
	v_sub_f16_e32 v2, v3, v2
	;; [unrolled: 2-line block ×3, first 2 shown]
	v_sub_f16_e32 v1, v72, v62
	v_sub_f16_e32 v60, v56, v58
	v_sub_f16_e32 v62, v53, v49
	v_add_f16_e32 v60, v60, v62
	v_add_f16_e32 v62, v58, v49
	;; [unrolled: 1-line block ×3, first 2 shown]
	v_sub_f16_e32 v47, v69, v47
	v_add_f16_e32 v69, v67, v73
	v_sub_f16_e32 v67, v67, v73
	v_add_f16_e32 v73, v63, v64
	v_sub_f16_e32 v77, v63, v64
	v_fma_f16 v62, v62, -0.5, v35
	v_sub_f16_e32 v63, v9, v15
	v_fma_f16 v64, v63, s6, v62
	v_sub_f16_e32 v72, v11, v13
	v_fma_f16 v62, v63, s7, v62
	v_fma_f16 v64, v72, s0, v64
	;; [unrolled: 1-line block ×5, first 2 shown]
	v_sub_f16_e32 v62, v58, v56
	v_add_f16_e32 v62, v62, v81
	v_add_f16_e32 v81, v56, v53
	v_fma_f16 v81, v81, -0.5, v35
	v_add_f16_e32 v35, v35, v56
	v_add_f16_e32 v35, v35, v58
	;; [unrolled: 1-line block ×4, first 2 shown]
	v_sub_f16_e32 v53, v56, v53
	v_sub_f16_e32 v49, v58, v49
	;; [unrolled: 1-line block ×4, first 2 shown]
	v_fma_f16 v82, v72, s7, v81
	v_fma_f16 v72, v72, s6, v81
	v_add_f16_e32 v56, v56, v58
	v_add_f16_e32 v58, v11, v13
	v_fma_f16 v81, v63, s0, v82
	v_fma_f16 v63, v63, s1, v72
	v_fma_f16 v58, v58, -0.5, v75
	v_fma_f16 v72, v62, s8, v81
	v_fma_f16 v62, v62, s8, v63
	;; [unrolled: 1-line block ×8, first 2 shown]
	v_add_f16_e32 v58, v9, v15
	v_fma_f16 v58, v58, -0.5, v75
	v_add_f16_e32 v75, v75, v9
	v_add_f16_e32 v75, v75, v11
	v_sub_f16_e32 v9, v11, v9
	v_add_f16_e32 v11, v75, v13
	v_sub_f16_e32 v13, v13, v15
	v_add_f16_e32 v11, v11, v15
	v_add_f16_e32 v9, v9, v13
	v_fma_f16 v13, v49, s6, v58
	v_fma_f16 v15, v49, s7, v58
	;; [unrolled: 1-line block ×6, first 2 shown]
	v_sub_f16_e32 v15, v52, v54
	v_sub_f16_e32 v49, v61, v57
	v_add_f16_e32 v15, v15, v49
	v_add_f16_e32 v49, v54, v57
	v_fma_f16 v49, v49, -0.5, v55
	v_sub_f16_e32 v53, v10, v40
	v_fma_f16 v58, v53, s6, v49
	v_sub_f16_e32 v75, v12, v14
	v_fma_f16 v49, v53, s7, v49
	v_fma_f16 v58, v75, s0, v58
	v_fma_f16 v49, v75, s1, v49
	v_fma_f16 v58, v15, s8, v58
	v_fma_f16 v15, v15, s8, v49
	v_sub_f16_e32 v49, v54, v52
	v_sub_f16_e32 v81, v57, v61
	v_add_f16_e32 v49, v49, v81
	v_add_f16_e32 v81, v52, v61
	v_fma_f16 v81, v81, -0.5, v55
	v_fma_f16 v82, v75, s7, v81
	v_fma_f16 v75, v75, s6, v81
	v_fma_f16 v81, v53, s0, v82
	v_fma_f16 v53, v53, s1, v75
	v_fma_f16 v75, v49, s8, v81
	v_fma_f16 v49, v49, s8, v53
	v_add_f16_e32 v53, v55, v52
	v_add_f16_e32 v53, v53, v54
	;; [unrolled: 1-line block ×3, first 2 shown]
	v_sub_f16_e32 v54, v54, v57
	v_sub_f16_e32 v55, v10, v12
	;; [unrolled: 1-line block ×3, first 2 shown]
	v_add_f16_e32 v55, v55, v57
	v_add_f16_e32 v57, v12, v14
	v_sub_f16_e32 v52, v52, v61
	v_fma_f16 v57, v57, -0.5, v8
	v_add_f16_e32 v53, v53, v61
	v_fma_f16 v61, v52, s7, v57
	v_fma_f16 v57, v52, s6, v57
	;; [unrolled: 1-line block ×6, first 2 shown]
	v_add_f16_e32 v57, v10, v40
	v_fma_f16 v57, v57, -0.5, v8
	v_add_f16_e32 v8, v8, v10
	v_add_f16_e32 v8, v8, v12
	v_sub_f16_e32 v10, v12, v10
	v_sub_f16_e32 v12, v14, v40
	v_add_f16_e32 v10, v10, v12
	v_fma_f16 v12, v54, s6, v57
	v_add_f16_e32 v8, v8, v14
	v_fma_f16 v14, v54, s7, v57
	v_fma_f16 v12, v52, s1, v12
	;; [unrolled: 1-line block ×4, first 2 shown]
	v_mul_f16_e32 v54, 0xbb9c, v75
	v_fma_f16 v10, v10, s8, v14
	v_mul_f16_e32 v52, 0x3b9c, v12
	v_fma_f16 v12, v12, s8, v54
	v_mul_f16_e32 v54, 0x34f2, v49
	v_fma_f16 v54, v10, s6, -v54
	v_mul_f16_e32 v10, 0x34f2, v10
	v_fma_f16 v10, v49, s7, -v10
	v_mul_f16_e32 v49, 0x3a79, v15
	v_add_f16_e32 v8, v8, v40
	v_mul_f16_e32 v40, 0xb8b4, v58
	v_fma_f16 v49, v55, s0, -v49
	v_mul_f16_e32 v55, 0x3a79, v55
	v_fma_f16 v40, v61, s9, v40
	v_fma_f16 v52, v75, s8, v52
	v_fma_f16 v15, v15, s1, -v55
	v_add_f16_e32 v57, v72, v52
	v_sub_f16_e32 v52, v72, v52
	v_add_f16_e32 v72, v11, v8
	v_sub_f16_e32 v8, v11, v8
	;; [unrolled: 2-line block ×6, first 2 shown]
	v_sub_f16_e32 v40, v45, v48
	v_sub_f16_e32 v56, v41, v50
	v_add_f16_e32 v40, v40, v56
	v_add_f16_e32 v56, v48, v50
	v_mul_f16_e32 v14, 0x38b4, v61
	v_add_f16_e32 v61, v60, v49
	v_sub_f16_e32 v49, v60, v49
	v_fma_f16 v56, v56, -0.5, v34
	v_sub_f16_e32 v60, v17, v7
	v_fma_f16 v14, v58, s9, v14
	v_add_f16_e32 v58, v62, v54
	v_sub_f16_e32 v54, v62, v54
	v_fma_f16 v62, v60, s6, v56
	v_sub_f16_e32 v63, v19, v5
	v_fma_f16 v56, v60, s7, v56
	v_fma_f16 v62, v63, s0, v62
	;; [unrolled: 1-line block ×3, first 2 shown]
	v_add_f16_e32 v55, v35, v53
	v_sub_f16_e32 v35, v35, v53
	v_add_f16_e32 v53, v64, v14
	v_sub_f16_e32 v14, v64, v14
	v_fma_f16 v62, v40, s8, v62
	v_fma_f16 v40, v40, s8, v56
	v_sub_f16_e32 v56, v48, v45
	v_sub_f16_e32 v64, v50, v41
	v_add_f16_e32 v56, v56, v64
	v_add_f16_e32 v64, v45, v41
	v_fma_f16 v64, v64, -0.5, v34
	v_add_f16_e32 v34, v34, v45
	v_add_f16_e32 v34, v34, v48
	;; [unrolled: 1-line block ×4, first 2 shown]
	v_sub_f16_e32 v41, v45, v41
	v_sub_f16_e32 v45, v48, v50
	;; [unrolled: 1-line block ×4, first 2 shown]
	v_fma_f16 v82, v63, s7, v64
	v_fma_f16 v63, v63, s6, v64
	v_add_f16_e32 v48, v48, v50
	v_add_f16_e32 v50, v19, v5
	v_fma_f16 v64, v60, s0, v82
	v_fma_f16 v60, v60, s1, v63
	v_fma_f16 v50, v50, -0.5, v76
	v_fma_f16 v63, v56, s8, v64
	v_fma_f16 v56, v56, s8, v60
	;; [unrolled: 1-line block ×6, first 2 shown]
	v_add_f16_e32 v64, v76, v17
	v_fma_f16 v60, v48, s8, v60
	v_fma_f16 v48, v48, s8, v50
	v_add_f16_e32 v50, v17, v7
	v_add_f16_e32 v64, v64, v19
	v_fma_f16 v50, v50, -0.5, v76
	v_sub_f16_e32 v17, v19, v17
	v_add_f16_e32 v19, v64, v5
	v_sub_f16_e32 v5, v5, v7
	v_add_f16_e32 v19, v19, v7
	v_add_f16_e32 v5, v17, v5
	v_fma_f16 v7, v45, s6, v50
	v_fma_f16 v17, v45, s7, v50
	;; [unrolled: 1-line block ×6, first 2 shown]
	v_sub_f16_e32 v17, v51, v42
	v_sub_f16_e32 v41, v59, v46
	v_add_f16_e32 v17, v17, v41
	v_add_f16_e32 v41, v42, v46
	v_fma_f16 v41, v41, -0.5, v44
	v_sub_f16_e32 v45, v18, v39
	v_fma_f16 v50, v45, s6, v41
	v_sub_f16_e32 v64, v4, v6
	v_fma_f16 v41, v45, s7, v41
	v_fma_f16 v50, v64, s0, v50
	;; [unrolled: 1-line block ×5, first 2 shown]
	v_sub_f16_e32 v41, v42, v51
	v_sub_f16_e32 v76, v46, v59
	v_add_f16_e32 v41, v41, v76
	v_add_f16_e32 v76, v51, v59
	v_fma_f16 v76, v76, -0.5, v44
	v_fma_f16 v82, v64, s7, v76
	v_fma_f16 v64, v64, s6, v76
	v_add_f16_e32 v44, v44, v51
	v_fma_f16 v76, v45, s0, v82
	v_fma_f16 v45, v45, s1, v64
	v_add_f16_e32 v44, v44, v42
	;; [unrolled: 3-line block ×3, first 2 shown]
	v_sub_f16_e32 v45, v51, v59
	v_sub_f16_e32 v42, v42, v46
	;; [unrolled: 1-line block ×4, first 2 shown]
	v_add_f16_e32 v46, v46, v51
	v_add_f16_e32 v51, v4, v6
	v_fma_f16 v51, v51, -0.5, v16
	v_add_f16_e32 v44, v44, v59
	v_fma_f16 v59, v45, s7, v51
	v_fma_f16 v51, v45, s6, v51
	;; [unrolled: 1-line block ×6, first 2 shown]
	v_add_f16_e32 v51, v18, v39
	v_fma_f16 v51, v51, -0.5, v16
	v_add_f16_e32 v16, v16, v18
	v_add_f16_e32 v16, v16, v4
	v_sub_f16_e32 v4, v4, v18
	v_add_f16_e32 v16, v16, v6
	v_sub_f16_e32 v6, v6, v39
	v_add_f16_e32 v4, v4, v6
	v_fma_f16 v6, v42, s6, v51
	v_add_f16_e32 v16, v16, v39
	v_fma_f16 v18, v42, s7, v51
	v_fma_f16 v6, v45, s1, v6
	v_mul_f16_e32 v39, 0xb8b4, v50
	v_fma_f16 v18, v45, s0, v18
	v_fma_f16 v6, v4, s8, v6
	;; [unrolled: 1-line block ×3, first 2 shown]
	v_mul_f16_e32 v45, 0xbb9c, v64
	v_fma_f16 v4, v4, s8, v18
	v_mul_f16_e32 v42, 0x3b9c, v6
	v_fma_f16 v6, v6, s8, v45
	v_mul_f16_e32 v45, 0x34f2, v41
	v_add_f16_e32 v76, v19, v16
	v_sub_f16_e32 v16, v19, v16
	v_add_f16_e32 v19, v60, v39
	v_sub_f16_e32 v82, v60, v39
	v_mul_u32_u24_e32 v39, 60, v28
	v_mov_b32_e32 v28, 1
	v_fma_f16 v45, v4, s6, -v45
	v_mul_f16_e32 v4, 0x34f2, v4
	v_lshlrev_b32_sdwa v29, v28, v29 dst_sel:DWORD dst_unused:UNUSED_PAD src0_sel:DWORD src1_sel:BYTE_0
	v_lshlrev_b32_sdwa v33, v28, v33 dst_sel:DWORD dst_unused:UNUSED_PAD src0_sel:DWORD src1_sel:BYTE_0
	v_mul_f16_e32 v18, 0x38b4, v59
	v_fma_f16 v4, v41, s7, -v4
	v_mul_f16_e32 v41, 0x3a79, v17
	v_add3_u32 v29, 0, v39, v29
	v_add3_u32 v32, 0, v32, v33
	v_fma_f16 v18, v50, s9, v18
	v_fma_f16 v42, v64, s8, v42
	v_fma_f16 v41, v46, s0, -v41
	v_mul_f16_e32 v46, 0x3a79, v46
	ds_write_b16 v29, v43
	ds_write_b16 v29, v74 offset:6
	ds_write_b16 v29, v71 offset:12
	;; [unrolled: 1-line block ×9, first 2 shown]
	ds_write_b16 v32, v55
	ds_write_b16 v32, v53 offset:6
	ds_write_b16 v32, v57 offset:12
	;; [unrolled: 1-line block ×9, first 2 shown]
	v_mul_u32_u24_e32 v14, 60, v36
	v_lshlrev_b32_e32 v33, 1, v37
	v_fma_f16 v17, v17, s1, -v46
	v_add_f16_e32 v46, v34, v44
	v_sub_f16_e32 v34, v34, v44
	v_add_f16_e32 v44, v62, v18
	v_add_f16_e32 v50, v63, v42
	v_sub_f16_e32 v42, v63, v42
	v_add_f16_e32 v51, v56, v45
	v_sub_f16_e32 v45, v56, v45
	;; [unrolled: 2-line block ×3, first 2 shown]
	v_add3_u32 v14, 0, v14, v33
	v_sub_f16_e32 v18, v62, v18
	v_add_f16_e32 v83, v7, v6
	v_sub_f16_e32 v6, v7, v6
	v_add_f16_e32 v7, v5, v4
	;; [unrolled: 2-line block ×3, first 2 shown]
	v_sub_f16_e32 v17, v48, v17
	ds_write_b16 v14, v46
	ds_write_b16 v14, v44 offset:6
	ds_write_b16 v14, v50 offset:12
	;; [unrolled: 1-line block ×9, first 2 shown]
	s_waitcnt lgkmcnt(0)
	s_barrier
	ds_read_u16 v38, v31
	ds_read_u16 v36, v31 offset:180
	ds_read_u16 v49, v31 offset:2880
	;; [unrolled: 1-line block ×29, first 2 shown]
	s_waitcnt lgkmcnt(0)
	s_barrier
	ds_write_b16 v29, v73
	ds_write_b16 v29, v68 offset:6
	ds_write_b16 v29, v79 offset:12
	ds_write_b16 v29, v80 offset:18
	ds_write_b16 v29, v3 offset:24
	ds_write_b16 v29, v77 offset:30
	ds_write_b16 v29, v78 offset:36
	ds_write_b16 v29, v2 offset:42
	ds_write_b16 v29, v0 offset:48
	ds_write_b16 v29, v1 offset:54
	ds_write_b16 v32, v72
	ds_write_b16 v32, v11 offset:6
	ds_write_b16 v32, v81 offset:12
	ds_write_b16 v32, v13 offset:18
	ds_write_b16 v32, v10 offset:24
	ds_write_b16 v32, v8 offset:30
	ds_write_b16 v32, v75 offset:36
	ds_write_b16 v32, v12 offset:42
	ds_write_b16 v32, v9 offset:48
	ds_write_b16 v32, v15 offset:54
	;; [unrolled: 10-line block ×3, first 2 shown]
	v_mul_lo_u16_sdwa v0, v30, s14 dst_sel:DWORD dst_unused:UNUSED_PAD src0_sel:BYTE_0 src1_sel:DWORD
	v_lshrrev_b16_e32 v29, 12, v0
	v_mul_lo_u16_e32 v0, 30, v29
	v_sub_u16_e32 v32, v30, v0
	v_mul_u32_u24_sdwa v0, v32, v23 dst_sel:DWORD dst_unused:UNUSED_PAD src0_sel:BYTE_0 src1_sel:DWORD
	v_lshlrev_b32_e32 v66, 2, v0
	s_waitcnt lgkmcnt(0)
	s_barrier
	global_load_dwordx4 v[4:7], v66, s[12:13] offset:108
	global_load_dwordx4 v[0:3], v66, s[12:13] offset:124
	v_mul_lo_u16_sdwa v8, v26, s14 dst_sel:DWORD dst_unused:UNUSED_PAD src0_sel:BYTE_0 src1_sel:DWORD
	v_lshrrev_b16_e32 v33, 12, v8
	v_mul_lo_u16_e32 v8, 30, v33
	v_sub_u16_e32 v34, v26, v8
	v_mul_u32_u24_sdwa v8, v34, v23 dst_sel:DWORD dst_unused:UNUSED_PAD src0_sel:BYTE_0 src1_sel:DWORD
	v_lshlrev_b32_e32 v67, 2, v8
	global_load_dwordx4 v[8:11], v67, s[12:13] offset:108
	global_load_dwordx4 v[12:15], v67, s[12:13] offset:124
	ds_read_u16 v68, v31 offset:1260
	ds_read_u16 v71, v31 offset:1080
	;; [unrolled: 1-line block ×5, first 2 shown]
	s_mov_b32 s14, 0x8889
	v_mul_u32_u24_sdwa v16, v27, s14 dst_sel:DWORD dst_unused:UNUSED_PAD src0_sel:WORD_0 src1_sel:DWORD
	v_lshrrev_b32_e32 v23, 20, v16
	v_mul_lo_u16_e32 v16, 30, v23
	v_sub_u16_e32 v37, v27, v16
	v_mul_u32_u24_e32 v16, 9, v37
	v_lshlrev_b32_e32 v72, 2, v16
	global_load_dwordx4 v[16:19], v72, s[12:13] offset:108
	ds_read_u16 v74, v31
	ds_read_u16 v75, v31 offset:180
	ds_read_u16 v76, v31 offset:360
	v_mul_u32_u24_e32 v29, 0x258, v29
	v_lshlrev_b32_sdwa v32, v28, v32 dst_sel:DWORD dst_unused:UNUSED_PAD src0_sel:DWORD src1_sel:BYTE_0
	v_add3_u32 v29, 0, v29, v32
	v_mul_u32_u24_e32 v32, 0x258, v33
	v_lshlrev_b32_sdwa v28, v28, v34 dst_sel:DWORD dst_unused:UNUSED_PAD src0_sel:DWORD src1_sel:BYTE_0
	v_add3_u32 v28, 0, v32, v28
	v_add_u32_e32 v32, 0x10e, v30
	v_add_u32_e32 v33, 0x21c, v30
	;; [unrolled: 1-line block ×3, first 2 shown]
	s_waitcnt vmcnt(4) lgkmcnt(3)
	v_mul_f16_sdwa v77, v73, v4 dst_sel:DWORD dst_unused:UNUSED_PAD src0_sel:DWORD src1_sel:WORD_1
	v_fma_f16 v77, v65, v4, -v77
	v_mul_f16_sdwa v65, v65, v4 dst_sel:DWORD dst_unused:UNUSED_PAD src0_sel:DWORD src1_sel:WORD_1
	v_fma_f16 v65, v73, v4, v65
	v_mul_f16_sdwa v4, v71, v5 dst_sel:DWORD dst_unused:UNUSED_PAD src0_sel:DWORD src1_sel:WORD_1
	v_fma_f16 v73, v63, v5, -v4
	v_mul_f16_sdwa v4, v63, v5 dst_sel:DWORD dst_unused:UNUSED_PAD src0_sel:DWORD src1_sel:WORD_1
	v_fma_f16 v63, v71, v5, v4
	ds_read_u16 v4, v31 offset:1620
	ds_read_u16 v71, v31 offset:1800
	;; [unrolled: 1-line block ×8, first 2 shown]
	s_waitcnt lgkmcnt(7)
	v_mul_f16_sdwa v83, v4, v6 dst_sel:DWORD dst_unused:UNUSED_PAD src0_sel:DWORD src1_sel:WORD_1
	v_fma_f16 v83, v64, v6, -v83
	v_mul_f16_sdwa v64, v64, v6 dst_sel:DWORD dst_unused:UNUSED_PAD src0_sel:DWORD src1_sel:WORD_1
	v_fma_f16 v64, v4, v6, v64
	s_waitcnt lgkmcnt(2)
	v_mul_f16_sdwa v4, v5, v7 dst_sel:DWORD dst_unused:UNUSED_PAD src0_sel:DWORD src1_sel:WORD_1
	v_fma_f16 v84, v62, v7, -v4
	v_mul_f16_sdwa v4, v62, v7 dst_sel:DWORD dst_unused:UNUSED_PAD src0_sel:DWORD src1_sel:WORD_1
	v_fma_f16 v62, v5, v7, v4
	s_waitcnt vmcnt(3)
	v_mul_f16_sdwa v4, v79, v0 dst_sel:DWORD dst_unused:UNUSED_PAD src0_sel:DWORD src1_sel:WORD_1
	v_fma_f16 v85, v60, v0, -v4
	global_load_dwordx4 v[4:7], v72, s[12:13] offset:124
	v_mul_f16_sdwa v60, v60, v0 dst_sel:DWORD dst_unused:UNUSED_PAD src0_sel:DWORD src1_sel:WORD_1
	v_fma_f16 v0, v79, v0, v60
	ds_read_u16 v60, v31 offset:3240
	ds_read_u16 v79, v31 offset:3420
	;; [unrolled: 1-line block ×8, first 2 shown]
	s_waitcnt lgkmcnt(7)
	v_mul_f16_sdwa v92, v60, v1 dst_sel:DWORD dst_unused:UNUSED_PAD src0_sel:DWORD src1_sel:WORD_1
	v_fma_f16 v92, v61, v1, -v92
	v_mul_f16_sdwa v61, v61, v1 dst_sel:DWORD dst_unused:UNUSED_PAD src0_sel:DWORD src1_sel:WORD_1
	v_fma_f16 v1, v60, v1, v61
	global_load_dword v61, v66, s[12:13] offset:140
	s_waitcnt lgkmcnt(2)
	v_mul_f16_sdwa v60, v89, v2 dst_sel:DWORD dst_unused:UNUSED_PAD src0_sel:DWORD src1_sel:WORD_1
	v_fma_f16 v60, v59, v2, -v60
	v_mul_f16_sdwa v59, v59, v2 dst_sel:DWORD dst_unused:UNUSED_PAD src0_sel:DWORD src1_sel:WORD_1
	v_fma_f16 v2, v89, v2, v59
	global_load_dword v59, v67, s[12:13] offset:140
	global_load_dword v66, v72, s[12:13] offset:140
	ds_read_u16 v67, v31 offset:4320
	ds_read_u16 v72, v31 offset:4500
	;; [unrolled: 1-line block ×6, first 2 shown]
	s_waitcnt lgkmcnt(5)
	v_mul_f16_sdwa v96, v67, v3 dst_sel:DWORD dst_unused:UNUSED_PAD src0_sel:DWORD src1_sel:WORD_1
	v_fma_f16 v96, v55, v3, -v96
	v_mul_f16_sdwa v55, v55, v3 dst_sel:DWORD dst_unused:UNUSED_PAD src0_sel:DWORD src1_sel:WORD_1
	v_fma_f16 v3, v67, v3, v55
	s_waitcnt vmcnt(6)
	v_mul_f16_sdwa v55, v70, v8 dst_sel:DWORD dst_unused:UNUSED_PAD src0_sel:DWORD src1_sel:WORD_1
	v_fma_f16 v55, v56, v8, -v55
	v_mul_f16_sdwa v56, v56, v8 dst_sel:DWORD dst_unused:UNUSED_PAD src0_sel:DWORD src1_sel:WORD_1
	v_fma_f16 v8, v70, v8, v56
	v_mul_f16_sdwa v56, v68, v9 dst_sel:DWORD dst_unused:UNUSED_PAD src0_sel:DWORD src1_sel:WORD_1
	v_fma_f16 v56, v52, v9, -v56
	v_mul_f16_sdwa v52, v52, v9 dst_sel:DWORD dst_unused:UNUSED_PAD src0_sel:DWORD src1_sel:WORD_1
	v_fma_f16 v9, v68, v9, v52
	v_mul_f16_sdwa v52, v71, v10 dst_sel:DWORD dst_unused:UNUSED_PAD src0_sel:DWORD src1_sel:WORD_1
	v_fma_f16 v52, v58, v10, -v52
	v_mul_f16_sdwa v58, v58, v10 dst_sel:DWORD dst_unused:UNUSED_PAD src0_sel:DWORD src1_sel:WORD_1
	v_fma_f16 v10, v71, v10, v58
	v_mul_f16_sdwa v58, v78, v11 dst_sel:DWORD dst_unused:UNUSED_PAD src0_sel:DWORD src1_sel:WORD_1
	v_fma_f16 v58, v54, v11, -v58
	v_mul_f16_sdwa v54, v54, v11 dst_sel:DWORD dst_unused:UNUSED_PAD src0_sel:DWORD src1_sel:WORD_1
	v_fma_f16 v11, v78, v11, v54
	s_waitcnt vmcnt(5)
	v_mul_f16_sdwa v54, v86, v12 dst_sel:DWORD dst_unused:UNUSED_PAD src0_sel:DWORD src1_sel:WORD_1
	v_fma_f16 v54, v49, v12, -v54
	v_mul_f16_sdwa v49, v49, v12 dst_sel:DWORD dst_unused:UNUSED_PAD src0_sel:DWORD src1_sel:WORD_1
	v_fma_f16 v12, v86, v12, v49
	v_mul_f16_sdwa v49, v79, v13 dst_sel:DWORD dst_unused:UNUSED_PAD src0_sel:DWORD src1_sel:WORD_1
	v_fma_f16 v49, v57, v13, -v49
	v_mul_f16_sdwa v57, v57, v13 dst_sel:DWORD dst_unused:UNUSED_PAD src0_sel:DWORD src1_sel:WORD_1
	v_fma_f16 v13, v79, v13, v57
	;; [unrolled: 4-line block ×3, first 2 shown]
	s_waitcnt lgkmcnt(4)
	v_mul_f16_sdwa v53, v72, v15 dst_sel:DWORD dst_unused:UNUSED_PAD src0_sel:DWORD src1_sel:WORD_1
	v_fma_f16 v53, v44, v15, -v53
	v_mul_f16_sdwa v44, v44, v15 dst_sel:DWORD dst_unused:UNUSED_PAD src0_sel:DWORD src1_sel:WORD_1
	v_fma_f16 v15, v72, v15, v44
	s_waitcnt vmcnt(4)
	v_mul_f16_sdwa v44, v69, v16 dst_sel:DWORD dst_unused:UNUSED_PAD src0_sel:DWORD src1_sel:WORD_1
	v_fma_f16 v44, v45, v16, -v44
	v_mul_f16_sdwa v45, v45, v16 dst_sel:DWORD dst_unused:UNUSED_PAD src0_sel:DWORD src1_sel:WORD_1
	v_fma_f16 v16, v69, v16, v45
	v_mul_f16_sdwa v45, v82, v17 dst_sel:DWORD dst_unused:UNUSED_PAD src0_sel:DWORD src1_sel:WORD_1
	v_fma_f16 v45, v51, v17, -v45
	v_mul_f16_sdwa v51, v51, v17 dst_sel:DWORD dst_unused:UNUSED_PAD src0_sel:DWORD src1_sel:WORD_1
	v_fma_f16 v17, v82, v17, v51
	v_mul_f16_sdwa v51, v81, v18 dst_sel:DWORD dst_unused:UNUSED_PAD src0_sel:DWORD src1_sel:WORD_1
	v_fma_f16 v51, v48, v18, -v51
	v_mul_f16_sdwa v48, v48, v18 dst_sel:DWORD dst_unused:UNUSED_PAD src0_sel:DWORD src1_sel:WORD_1
	v_fma_f16 v18, v81, v18, v48
	v_mul_f16_sdwa v48, v80, v19 dst_sel:DWORD dst_unused:UNUSED_PAD src0_sel:DWORD src1_sel:WORD_1
	v_fma_f16 v48, v42, v19, -v48
	v_mul_f16_sdwa v42, v42, v19 dst_sel:DWORD dst_unused:UNUSED_PAD src0_sel:DWORD src1_sel:WORD_1
	v_fma_f16 v19, v80, v19, v42
	v_sub_f16_e32 v67, v73, v84
	v_sub_f16_e32 v68, v96, v92
	v_add_f16_e32 v67, v67, v68
	v_sub_f16_e32 v68, v63, v3
	v_sub_f16_e32 v70, v62, v1
	;; [unrolled: 1-line block ×3, first 2 shown]
	s_waitcnt vmcnt(0) lgkmcnt(0)
	s_barrier
	v_mul_f16_sdwa v42, v91, v4 dst_sel:DWORD dst_unused:UNUSED_PAD src0_sel:DWORD src1_sel:WORD_1
	v_fma_f16 v42, v50, v4, -v42
	v_mul_f16_sdwa v50, v50, v4 dst_sel:DWORD dst_unused:UNUSED_PAD src0_sel:DWORD src1_sel:WORD_1
	v_fma_f16 v4, v91, v4, v50
	v_mul_f16_sdwa v50, v90, v5 dst_sel:DWORD dst_unused:UNUSED_PAD src0_sel:DWORD src1_sel:WORD_1
	v_fma_f16 v50, v46, v5, -v50
	v_mul_f16_sdwa v46, v46, v5 dst_sel:DWORD dst_unused:UNUSED_PAD src0_sel:DWORD src1_sel:WORD_1
	v_fma_f16 v5, v90, v5, v46
	;; [unrolled: 4-line block ×7, first 2 shown]
	v_add_f16_e32 v66, v84, v92
	v_fma_f16 v66, v66, -0.5, v38
	v_fma_f16 v69, v68, s6, v66
	v_fma_f16 v66, v68, s7, v66
	;; [unrolled: 1-line block ×6, first 2 shown]
	v_sub_f16_e32 v67, v84, v73
	v_add_f16_e32 v67, v67, v71
	v_add_f16_e32 v71, v73, v96
	v_fma_f16 v71, v71, -0.5, v38
	v_fma_f16 v72, v70, s7, v71
	v_fma_f16 v70, v70, s6, v71
	;; [unrolled: 1-line block ×6, first 2 shown]
	v_add_f16_e32 v38, v38, v73
	v_sub_f16_e32 v68, v73, v96
	v_sub_f16_e32 v72, v63, v62
	;; [unrolled: 1-line block ×3, first 2 shown]
	v_add_f16_e32 v72, v72, v73
	v_add_f16_e32 v73, v62, v1
	v_fma_f16 v73, v73, -0.5, v74
	v_sub_f16_e32 v71, v84, v92
	v_fma_f16 v78, v68, s7, v73
	v_fma_f16 v73, v68, s6, v73
	;; [unrolled: 1-line block ×6, first 2 shown]
	v_add_f16_e32 v73, v63, v3
	v_fma_f16 v73, v73, -0.5, v74
	v_add_f16_e32 v74, v74, v63
	v_add_f16_e32 v74, v74, v62
	v_sub_f16_e32 v62, v62, v63
	v_add_f16_e32 v63, v74, v1
	v_sub_f16_e32 v1, v1, v3
	v_add_f16_e32 v63, v63, v3
	v_add_f16_e32 v1, v62, v1
	v_fma_f16 v3, v71, s6, v73
	v_fma_f16 v62, v71, s7, v73
	;; [unrolled: 1-line block ×6, first 2 shown]
	v_sub_f16_e32 v62, v83, v85
	v_sub_f16_e32 v68, v47, v60
	v_add_f16_e32 v62, v62, v68
	v_add_f16_e32 v68, v85, v60
	v_fma_f16 v68, v68, -0.5, v77
	v_sub_f16_e32 v71, v64, v43
	v_fma_f16 v73, v71, s6, v68
	v_sub_f16_e32 v74, v0, v2
	v_fma_f16 v68, v71, s7, v68
	v_fma_f16 v73, v74, s0, v73
	;; [unrolled: 1-line block ×5, first 2 shown]
	v_sub_f16_e32 v68, v85, v83
	v_sub_f16_e32 v79, v60, v47
	v_add_f16_e32 v68, v68, v79
	v_add_f16_e32 v79, v83, v47
	v_fma_f16 v79, v79, -0.5, v77
	v_fma_f16 v80, v74, s7, v79
	v_fma_f16 v74, v74, s6, v79
	v_fma_f16 v79, v71, s0, v80
	v_fma_f16 v71, v71, s1, v74
	v_fma_f16 v74, v68, s8, v79
	v_fma_f16 v68, v68, s8, v71
	v_add_f16_e32 v71, v77, v83
	v_add_f16_e32 v71, v71, v85
	v_sub_f16_e32 v77, v64, v0
	v_sub_f16_e32 v79, v43, v2
	v_add_f16_e32 v71, v71, v60
	v_add_f16_e32 v77, v77, v79
	;; [unrolled: 1-line block ×4, first 2 shown]
	v_sub_f16_e32 v47, v83, v47
	v_fma_f16 v79, v79, -0.5, v65
	v_sub_f16_e32 v60, v85, v60
	v_fma_f16 v80, v47, s7, v79
	v_fma_f16 v79, v47, s6, v79
	;; [unrolled: 1-line block ×6, first 2 shown]
	v_add_f16_e32 v79, v64, v43
	v_fma_f16 v79, v79, -0.5, v65
	v_add_f16_e32 v65, v65, v64
	v_add_f16_e32 v65, v65, v0
	v_sub_f16_e32 v0, v0, v64
	v_add_f16_e32 v64, v65, v2
	v_sub_f16_e32 v2, v2, v43
	v_add_f16_e32 v64, v64, v43
	v_add_f16_e32 v0, v0, v2
	v_fma_f16 v2, v60, s6, v79
	v_fma_f16 v43, v60, s7, v79
	;; [unrolled: 1-line block ×4, first 2 shown]
	v_mul_f16_e32 v47, 0x38b4, v80
	v_fma_f16 v2, v0, s8, v2
	v_fma_f16 v47, v73, s9, v47
	v_mul_f16_e32 v60, 0xb8b4, v73
	v_mul_f16_e32 v73, 0xbb9c, v74
	v_fma_f16 v0, v0, s8, v43
	v_mul_f16_e32 v65, 0x3b9c, v2
	v_fma_f16 v2, v2, s8, v73
	;; [unrolled: 2-line block ×3, first 2 shown]
	v_fma_f16 v73, v0, s6, -v73
	v_mul_f16_e32 v0, 0x34f2, v0
	v_mul_f16_e32 v74, 0x3a79, v77
	v_fma_f16 v60, v80, s9, v60
	v_fma_f16 v0, v68, s7, -v0
	v_mul_f16_e32 v68, 0x3a79, v62
	v_fma_f16 v62, v62, s1, -v74
	v_add_f16_e32 v38, v38, v84
	v_fma_f16 v68, v77, s0, -v68
	v_add_f16_e32 v77, v78, v60
	v_add_f16_e32 v80, v3, v2
	v_sub_f16_e32 v78, v78, v60
	v_add_f16_e32 v81, v1, v0
	v_sub_f16_e32 v2, v3, v2
	;; [unrolled: 2-line block ×3, first 2 shown]
	v_sub_f16_e32 v1, v72, v62
	v_sub_f16_e32 v60, v56, v58
	;; [unrolled: 1-line block ×3, first 2 shown]
	v_add_f16_e32 v38, v38, v92
	v_add_f16_e32 v60, v60, v62
	;; [unrolled: 1-line block ×5, first 2 shown]
	v_sub_f16_e32 v47, v69, v47
	v_add_f16_e32 v69, v67, v73
	v_sub_f16_e32 v67, v67, v73
	v_add_f16_e32 v73, v63, v64
	v_sub_f16_e32 v79, v63, v64
	v_fma_f16 v62, v62, -0.5, v36
	v_sub_f16_e32 v63, v9, v15
	v_add_f16_e32 v43, v38, v71
	v_sub_f16_e32 v38, v38, v71
	v_add_f16_e32 v71, v70, v65
	;; [unrolled: 2-line block ×3, first 2 shown]
	v_sub_f16_e32 v66, v66, v68
	v_fma_f16 v64, v63, s6, v62
	v_sub_f16_e32 v68, v11, v13
	v_fma_f16 v62, v63, s7, v62
	v_fma_f16 v64, v68, s0, v64
	;; [unrolled: 1-line block ×5, first 2 shown]
	v_sub_f16_e32 v62, v58, v56
	v_sub_f16_e32 v72, v49, v53
	v_add_f16_e32 v62, v62, v72
	v_add_f16_e32 v72, v56, v53
	v_fma_f16 v72, v72, -0.5, v36
	v_add_f16_e32 v36, v36, v56
	v_add_f16_e32 v36, v36, v58
	;; [unrolled: 1-line block ×4, first 2 shown]
	v_sub_f16_e32 v53, v56, v53
	v_sub_f16_e32 v49, v58, v49
	;; [unrolled: 1-line block ×4, first 2 shown]
	v_fma_f16 v82, v68, s7, v72
	v_fma_f16 v68, v68, s6, v72
	v_add_f16_e32 v56, v56, v58
	v_add_f16_e32 v58, v11, v13
	v_fma_f16 v72, v63, s0, v82
	v_fma_f16 v63, v63, s1, v68
	v_fma_f16 v58, v58, -0.5, v75
	v_fma_f16 v68, v62, s8, v72
	v_fma_f16 v62, v62, s8, v63
	v_fma_f16 v63, v53, s7, v58
	v_fma_f16 v58, v53, s6, v58
	v_fma_f16 v63, v49, s1, v63
	v_fma_f16 v58, v49, s0, v58
	v_add_f16_e32 v72, v75, v9
	v_fma_f16 v63, v56, s8, v63
	v_fma_f16 v56, v56, s8, v58
	v_add_f16_e32 v58, v9, v15
	v_add_f16_e32 v72, v72, v11
	v_fma_f16 v58, v58, -0.5, v75
	v_sub_f16_e32 v9, v11, v9
	v_add_f16_e32 v11, v72, v13
	v_sub_f16_e32 v13, v13, v15
	v_add_f16_e32 v11, v11, v15
	v_add_f16_e32 v9, v9, v13
	v_fma_f16 v13, v49, s6, v58
	v_fma_f16 v15, v49, s7, v58
	;; [unrolled: 1-line block ×6, first 2 shown]
	v_sub_f16_e32 v15, v52, v54
	v_sub_f16_e32 v49, v61, v57
	v_add_f16_e32 v15, v15, v49
	v_add_f16_e32 v49, v54, v57
	v_fma_f16 v49, v49, -0.5, v55
	v_sub_f16_e32 v53, v10, v40
	v_fma_f16 v58, v53, s6, v49
	v_sub_f16_e32 v72, v12, v14
	v_fma_f16 v49, v53, s7, v49
	v_fma_f16 v58, v72, s0, v58
	;; [unrolled: 1-line block ×5, first 2 shown]
	v_sub_f16_e32 v49, v54, v52
	v_sub_f16_e32 v75, v57, v61
	v_add_f16_e32 v49, v49, v75
	v_add_f16_e32 v75, v52, v61
	v_fma_f16 v75, v75, -0.5, v55
	v_fma_f16 v82, v72, s7, v75
	v_fma_f16 v72, v72, s6, v75
	;; [unrolled: 1-line block ×6, first 2 shown]
	v_add_f16_e32 v53, v55, v52
	v_add_f16_e32 v53, v53, v54
	;; [unrolled: 1-line block ×3, first 2 shown]
	v_sub_f16_e32 v54, v54, v57
	v_sub_f16_e32 v55, v10, v12
	;; [unrolled: 1-line block ×3, first 2 shown]
	v_add_f16_e32 v55, v55, v57
	v_add_f16_e32 v57, v12, v14
	v_sub_f16_e32 v52, v52, v61
	v_fma_f16 v57, v57, -0.5, v8
	v_add_f16_e32 v53, v53, v61
	v_fma_f16 v61, v52, s7, v57
	v_fma_f16 v57, v52, s6, v57
	v_fma_f16 v61, v54, s1, v61
	v_fma_f16 v57, v54, s0, v57
	v_fma_f16 v61, v55, s8, v61
	v_fma_f16 v55, v55, s8, v57
	v_add_f16_e32 v57, v10, v40
	v_fma_f16 v57, v57, -0.5, v8
	v_add_f16_e32 v8, v8, v10
	v_add_f16_e32 v8, v8, v12
	v_sub_f16_e32 v10, v12, v10
	v_sub_f16_e32 v12, v14, v40
	v_add_f16_e32 v10, v10, v12
	v_fma_f16 v12, v54, s6, v57
	v_add_f16_e32 v8, v8, v14
	v_fma_f16 v14, v54, s7, v57
	v_fma_f16 v12, v52, s1, v12
	;; [unrolled: 1-line block ×4, first 2 shown]
	v_mul_f16_e32 v54, 0xbb9c, v72
	v_fma_f16 v10, v10, s8, v14
	v_mul_f16_e32 v52, 0x3b9c, v12
	v_fma_f16 v12, v12, s8, v54
	v_mul_f16_e32 v54, 0x34f2, v49
	v_fma_f16 v54, v10, s6, -v54
	v_mul_f16_e32 v10, 0x34f2, v10
	v_fma_f16 v10, v49, s7, -v10
	;; [unrolled: 2-line block ×3, first 2 shown]
	v_mul_f16_e32 v55, 0x3a79, v55
	v_add_f16_e32 v8, v8, v40
	v_mul_f16_e32 v40, 0xb8b4, v58
	v_fma_f16 v15, v15, s1, -v55
	v_mul_f16_e32 v14, 0x38b4, v61
	v_fma_f16 v40, v61, s9, v40
	v_add_f16_e32 v61, v60, v49
	v_sub_f16_e32 v49, v60, v49
	v_add_f16_e32 v75, v13, v12
	v_sub_f16_e32 v12, v13, v12
	;; [unrolled: 2-line block ×4, first 2 shown]
	v_sub_f16_e32 v56, v45, v48
	v_sub_f16_e32 v60, v41, v50
	v_add_f16_e32 v56, v56, v60
	v_add_f16_e32 v60, v48, v50
	v_fma_f16 v14, v58, s9, v14
	v_add_f16_e32 v58, v62, v54
	v_sub_f16_e32 v54, v62, v54
	v_fma_f16 v60, v60, -0.5, v35
	v_sub_f16_e32 v62, v17, v7
	v_fma_f16 v52, v72, s8, v52
	v_add_f16_e32 v55, v36, v53
	v_sub_f16_e32 v36, v36, v53
	v_add_f16_e32 v53, v64, v14
	v_sub_f16_e32 v14, v64, v14
	;; [unrolled: 2-line block ×4, first 2 shown]
	v_fma_f16 v63, v62, s6, v60
	v_sub_f16_e32 v64, v19, v5
	v_fma_f16 v60, v62, s7, v60
	v_fma_f16 v63, v64, s0, v63
	;; [unrolled: 1-line block ×3, first 2 shown]
	v_add_f16_e32 v57, v68, v52
	v_sub_f16_e32 v52, v68, v52
	v_fma_f16 v63, v56, s8, v63
	v_fma_f16 v56, v56, s8, v60
	v_sub_f16_e32 v60, v48, v45
	v_sub_f16_e32 v68, v50, v41
	v_add_f16_e32 v60, v60, v68
	v_add_f16_e32 v68, v45, v41
	v_fma_f16 v68, v68, -0.5, v35
	v_add_f16_e32 v35, v35, v45
	v_add_f16_e32 v35, v35, v48
	;; [unrolled: 1-line block ×4, first 2 shown]
	v_sub_f16_e32 v41, v45, v41
	v_sub_f16_e32 v45, v48, v50
	v_sub_f16_e32 v48, v17, v19
	v_sub_f16_e32 v50, v7, v5
	v_fma_f16 v82, v64, s7, v68
	v_fma_f16 v64, v64, s6, v68
	v_add_f16_e32 v48, v48, v50
	v_add_f16_e32 v50, v19, v5
	v_fma_f16 v68, v62, s0, v82
	v_fma_f16 v62, v62, s1, v64
	v_fma_f16 v50, v50, -0.5, v76
	v_fma_f16 v64, v60, s8, v68
	v_fma_f16 v60, v60, s8, v62
	;; [unrolled: 1-line block ×6, first 2 shown]
	v_add_f16_e32 v68, v76, v17
	v_fma_f16 v62, v48, s8, v62
	v_fma_f16 v48, v48, s8, v50
	v_add_f16_e32 v50, v17, v7
	v_add_f16_e32 v68, v68, v19
	v_fma_f16 v50, v50, -0.5, v76
	v_sub_f16_e32 v17, v19, v17
	v_add_f16_e32 v19, v68, v5
	v_sub_f16_e32 v5, v5, v7
	v_add_f16_e32 v19, v19, v7
	v_add_f16_e32 v5, v17, v5
	v_fma_f16 v7, v45, s6, v50
	v_fma_f16 v17, v45, s7, v50
	;; [unrolled: 1-line block ×6, first 2 shown]
	v_sub_f16_e32 v17, v51, v42
	v_sub_f16_e32 v41, v59, v46
	v_add_f16_e32 v17, v17, v41
	v_add_f16_e32 v41, v42, v46
	v_fma_f16 v41, v41, -0.5, v44
	v_sub_f16_e32 v45, v18, v39
	v_fma_f16 v50, v45, s6, v41
	v_sub_f16_e32 v68, v4, v6
	v_fma_f16 v41, v45, s7, v41
	v_fma_f16 v50, v68, s0, v50
	;; [unrolled: 1-line block ×5, first 2 shown]
	v_sub_f16_e32 v41, v42, v51
	v_sub_f16_e32 v76, v46, v59
	v_add_f16_e32 v41, v41, v76
	v_add_f16_e32 v76, v51, v59
	v_fma_f16 v76, v76, -0.5, v44
	v_fma_f16 v82, v68, s7, v76
	v_fma_f16 v68, v68, s6, v76
	v_add_f16_e32 v44, v44, v51
	v_fma_f16 v76, v45, s0, v82
	v_fma_f16 v45, v45, s1, v68
	v_add_f16_e32 v44, v44, v42
	;; [unrolled: 3-line block ×3, first 2 shown]
	v_sub_f16_e32 v45, v51, v59
	v_sub_f16_e32 v42, v42, v46
	;; [unrolled: 1-line block ×4, first 2 shown]
	v_add_f16_e32 v46, v46, v51
	v_add_f16_e32 v51, v4, v6
	v_fma_f16 v51, v51, -0.5, v16
	v_add_f16_e32 v44, v44, v59
	v_fma_f16 v59, v45, s7, v51
	v_fma_f16 v51, v45, s6, v51
	;; [unrolled: 1-line block ×6, first 2 shown]
	v_add_f16_e32 v51, v18, v39
	v_fma_f16 v51, v51, -0.5, v16
	v_add_f16_e32 v16, v16, v18
	v_add_f16_e32 v16, v16, v4
	v_sub_f16_e32 v4, v4, v18
	v_add_f16_e32 v16, v16, v6
	v_sub_f16_e32 v6, v6, v39
	v_add_f16_e32 v4, v4, v6
	v_fma_f16 v6, v42, s6, v51
	v_fma_f16 v18, v42, s7, v51
	;; [unrolled: 1-line block ×5, first 2 shown]
	v_mul_f16_e32 v45, 0xbb9c, v68
	v_fma_f16 v4, v4, s8, v18
	v_mul_f16_e32 v42, 0x3b9c, v6
	v_fma_f16 v6, v6, s8, v45
	v_mul_f16_e32 v45, 0x34f2, v41
	v_fma_f16 v45, v4, s6, -v45
	v_mul_f16_e32 v4, 0x34f2, v4
	v_mul_f16_e32 v18, 0x38b4, v59
	v_fma_f16 v4, v41, s7, -v4
	v_mul_f16_e32 v41, 0x3a79, v17
	v_add_f16_e32 v16, v16, v39
	v_fma_f16 v18, v50, s9, v18
	v_mul_f16_e32 v39, 0xb8b4, v50
	v_fma_f16 v42, v68, s8, v42
	v_fma_f16 v41, v46, s0, -v41
	v_mul_f16_e32 v46, 0x3a79, v46
	ds_write_b16 v29, v43
	ds_write_b16 v29, v74 offset:60
	ds_write_b16 v29, v71 offset:120
	;; [unrolled: 1-line block ×9, first 2 shown]
	ds_write_b16 v28, v55
	ds_write_b16 v28, v53 offset:60
	ds_write_b16 v28, v57 offset:120
	;; [unrolled: 1-line block ×9, first 2 shown]
	v_mul_u32_u24_e32 v14, 0x258, v23
	v_lshlrev_b32_e32 v23, 1, v37
	v_fma_f16 v39, v59, s9, v39
	v_fma_f16 v17, v17, s1, -v46
	v_add_f16_e32 v46, v35, v44
	v_sub_f16_e32 v35, v35, v44
	v_add_f16_e32 v44, v63, v18
	v_add_f16_e32 v50, v64, v42
	v_sub_f16_e32 v42, v64, v42
	v_add_f16_e32 v51, v60, v45
	v_sub_f16_e32 v45, v60, v45
	;; [unrolled: 2-line block ×3, first 2 shown]
	v_add3_u32 v14, 0, v14, v23
	v_mov_b32_e32 v23, 0
	v_sub_f16_e32 v18, v63, v18
	v_add_f16_e32 v76, v19, v16
	v_sub_f16_e32 v16, v19, v16
	v_add_f16_e32 v19, v62, v39
	;; [unrolled: 2-line block ×5, first 2 shown]
	v_sub_f16_e32 v17, v48, v17
	ds_write_b16 v14, v46
	ds_write_b16 v14, v44 offset:60
	ds_write_b16 v14, v50 offset:120
	ds_write_b16 v14, v51 offset:180
	ds_write_b16 v14, v59 offset:240
	ds_write_b16 v14, v35 offset:300
	ds_write_b16 v14, v18 offset:360
	ds_write_b16 v14, v42 offset:420
	ds_write_b16 v14, v45 offset:480
	ds_write_b16 v14, v41 offset:540
	s_waitcnt lgkmcnt(0)
	s_barrier
	ds_read_u16 v58, v31 offset:3960
	ds_read_u16 v55, v31 offset:4140
	;; [unrolled: 1-line block ×6, first 2 shown]
	ds_read_u16 v45, v31
	ds_read_u16 v44, v31 offset:180
	ds_read_u16 v43, v31 offset:360
	;; [unrolled: 1-line block ×23, first 2 shown]
	s_waitcnt lgkmcnt(0)
	s_barrier
	ds_write_b16 v29, v73
	ds_write_b16 v29, v77 offset:60
	ds_write_b16 v29, v80 offset:120
	ds_write_b16 v29, v81 offset:180
	ds_write_b16 v29, v3 offset:240
	ds_write_b16 v29, v79 offset:300
	ds_write_b16 v29, v78 offset:360
	ds_write_b16 v29, v2 offset:420
	ds_write_b16 v29, v0 offset:480
	ds_write_b16 v29, v1 offset:540
	ds_write_b16 v28, v72
	ds_write_b16 v28, v11 offset:60
	ds_write_b16 v28, v75 offset:120
	ds_write_b16 v28, v13 offset:180
	ds_write_b16 v28, v10 offset:240
	ds_write_b16 v28, v8 offset:300
	ds_write_b16 v28, v40 offset:360
	ds_write_b16 v28, v12 offset:420
	ds_write_b16 v28, v9 offset:480
	ds_write_b16 v28, v15 offset:540
	;; [unrolled: 10-line block ×3, first 2 shown]
	v_lshlrev_b64 v[0:1], 2, v[22:23]
	v_mov_b32_e32 v28, s13
	v_add_co_u32_e64 v0, s[0:1], s12, v0
	v_addc_co_u32_e64 v1, s[0:1], v28, v1, s[0:1]
	s_waitcnt lgkmcnt(0)
	s_barrier
	global_load_dwordx2 v[8:9], v[0:1], off offset:1188
	v_lshlrev_b32_e32 v2, 1, v26
	v_mov_b32_e32 v3, v23
	v_lshlrev_b64 v[2:3], 2, v[2:3]
	v_lshlrev_b32_e32 v4, 1, v27
	v_mov_b32_e32 v5, v23
	v_add_co_u32_e64 v2, s[0:1], s12, v2
	v_lshlrev_b64 v[4:5], 2, v[4:5]
	v_addc_co_u32_e64 v3, s[0:1], v28, v3, s[0:1]
	global_load_dwordx2 v[10:11], v[2:3], off offset:1188
	v_add_co_u32_e64 v4, s[0:1], s12, v4
	v_addc_co_u32_e64 v5, s[0:1], v28, v5, s[0:1]
	v_subrev_u32_e32 v6, 30, v30
	v_cmp_gt_u32_e64 s[0:1], 30, v30
	v_cndmask_b32_e64 v6, v6, v32, s[0:1]
	v_lshlrev_b32_e32 v6, 1, v6
	v_mov_b32_e32 v7, v23
	v_lshlrev_b64 v[12:13], 2, v[6:7]
	v_add_u32_e32 v18, 0x12c, v22
	v_add_co_u32_e64 v16, s[0:1], s12, v12
	v_addc_co_u32_e64 v17, s[0:1], v28, v13, s[0:1]
	global_load_dwordx2 v[14:15], v[4:5], off offset:1188
	global_load_dwordx2 v[12:13], v[16:17], off offset:1188
	v_add_u32_e32 v16, 0x78, v22
	v_mov_b32_e32 v17, v23
	v_lshlrev_b64 v[16:17], 2, v[16:17]
	v_mov_b32_e32 v19, v23
	v_add_co_u32_e64 v16, s[0:1], s12, v16
	v_addc_co_u32_e64 v17, s[0:1], v28, v17, s[0:1]
	v_lshlrev_b64 v[18:19], 2, v[18:19]
	v_lshrrev_b16_e32 v7, 2, v33
	global_load_dwordx2 v[16:17], v[16:17], off offset:1188
	v_lshrrev_b16_e32 v26, 2, v34
	v_mul_u32_u24_e32 v7, 0x6d3b, v7
	v_mul_u32_u24_e32 v26, 0x6d3b, v26
	v_add_co_u32_e64 v18, s[0:1], s12, v18
	v_lshrrev_b32_e32 v49, 21, v7
	v_lshrrev_b32_e32 v26, 21, v26
	v_addc_co_u32_e64 v19, s[0:1], v28, v19, s[0:1]
	global_load_dwordx2 v[28:29], v[18:19], off offset:1188
	v_mul_lo_u16_e32 v7, 0x12c, v49
	v_mul_lo_u16_e32 v26, 0x12c, v26
	v_sub_u16_e32 v57, v33, v7
	v_sub_u16_e32 v67, v34, v26
	v_lshlrev_b32_e32 v69, 3, v57
	v_lshlrev_b32_e32 v70, 3, v67
	global_load_dwordx2 v[26:27], v69, s[12:13] offset:1188
	global_load_dwordx2 v[18:19], v70, s[12:13] offset:1188
	ds_read_u16 v70, v31 offset:1800
	ds_read_u16 v69, v31 offset:1980
	;; [unrolled: 1-line block ×8, first 2 shown]
	v_add_u32_e32 v7, 0x2d0, v30
	v_add_u32_e32 v40, 0x32a, v30
	v_cmp_lt_u32_e64 s[0:1], 29, v30
	v_lshl_add_u32 v67, v67, 1, 0
	s_waitcnt vmcnt(7) lgkmcnt(7)
	v_mul_f16_sdwa v71, v70, v8 dst_sel:DWORD dst_unused:UNUSED_PAD src0_sel:DWORD src1_sel:WORD_1
	v_fma_f16 v80, v68, v8, -v71
	v_mul_f16_sdwa v68, v68, v8 dst_sel:DWORD dst_unused:UNUSED_PAD src0_sel:DWORD src1_sel:WORD_1
	v_fma_f16 v8, v70, v8, v68
	v_lshrrev_b16_e32 v68, 2, v7
	v_mul_u32_u24_e32 v68, 0x6d3b, v68
	v_lshrrev_b32_e32 v68, 21, v68
	v_mul_lo_u16_e32 v68, 0x12c, v68
	v_lshrrev_b16_e32 v71, 2, v40
	v_sub_u16_e32 v68, v7, v68
	v_mul_u32_u24_e32 v72, 0x6d3b, v71
	v_lshlrev_b32_e32 v70, 3, v68
	v_lshrrev_b32_e32 v72, 21, v72
	global_load_dwordx2 v[70:71], v70, s[12:13] offset:1188
	v_mul_lo_u16_e32 v72, 0x12c, v72
	v_sub_u16_e32 v81, v40, v72
	v_lshlrev_b32_e32 v72, 3, v81
	global_load_dwordx2 v[72:73], v72, s[12:13] offset:1188
	ds_read_u16 v82, v31 offset:3600
	ds_read_u16 v83, v31 offset:3780
	;; [unrolled: 1-line block ×8, first 2 shown]
	s_waitcnt lgkmcnt(7)
	v_mul_f16_sdwa v90, v82, v9 dst_sel:DWORD dst_unused:UNUSED_PAD src0_sel:DWORD src1_sel:WORD_1
	v_fma_f16 v90, v66, v9, -v90
	v_mul_f16_sdwa v66, v66, v9 dst_sel:DWORD dst_unused:UNUSED_PAD src0_sel:DWORD src1_sel:WORD_1
	v_fma_f16 v9, v82, v9, v66
	s_waitcnt vmcnt(8)
	v_mul_f16_sdwa v66, v69, v10 dst_sel:DWORD dst_unused:UNUSED_PAD src0_sel:DWORD src1_sel:WORD_1
	v_fma_f16 v66, v64, v10, -v66
	v_mul_f16_sdwa v64, v64, v10 dst_sel:DWORD dst_unused:UNUSED_PAD src0_sel:DWORD src1_sel:WORD_1
	v_fma_f16 v10, v69, v10, v64
	s_waitcnt lgkmcnt(6)
	v_mul_f16_sdwa v64, v83, v11 dst_sel:DWORD dst_unused:UNUSED_PAD src0_sel:DWORD src1_sel:WORD_1
	v_fma_f16 v64, v65, v11, -v64
	v_mul_f16_sdwa v65, v65, v11 dst_sel:DWORD dst_unused:UNUSED_PAD src0_sel:DWORD src1_sel:WORD_1
	v_fma_f16 v11, v83, v11, v65
	s_waitcnt vmcnt(7)
	v_mul_f16_sdwa v65, v74, v14 dst_sel:DWORD dst_unused:UNUSED_PAD src0_sel:DWORD src1_sel:WORD_1
	v_fma_f16 v65, v62, v14, -v65
	v_mul_f16_sdwa v62, v62, v14 dst_sel:DWORD dst_unused:UNUSED_PAD src0_sel:DWORD src1_sel:WORD_1
	v_fma_f16 v14, v74, v14, v62
	;; [unrolled: 10-line block ×4, first 2 shown]
	ds_read_u16 v56, v31 offset:4320
	ds_read_u16 v69, v31 offset:4500
	ds_read_u16 v74, v31 offset:4680
	ds_read_u16 v75, v31 offset:4860
	ds_read_u16 v76, v31 offset:5040
	ds_read_u16 v82, v31 offset:5220
	s_waitcnt lgkmcnt(5)
	v_mul_f16_sdwa v83, v56, v17 dst_sel:DWORD dst_unused:UNUSED_PAD src0_sel:DWORD src1_sel:WORD_1
	v_fma_f16 v83, v63, v17, -v83
	v_mul_f16_sdwa v63, v63, v17 dst_sel:DWORD dst_unused:UNUSED_PAD src0_sel:DWORD src1_sel:WORD_1
	v_fma_f16 v17, v56, v17, v63
	s_waitcnt vmcnt(4)
	v_mul_f16_sdwa v56, v77, v28 dst_sel:DWORD dst_unused:UNUSED_PAD src0_sel:DWORD src1_sel:WORD_1
	v_fma_f16 v56, v50, v28, -v56
	v_mul_f16_sdwa v50, v50, v28 dst_sel:DWORD dst_unused:UNUSED_PAD src0_sel:DWORD src1_sel:WORD_1
	v_fma_f16 v28, v77, v28, v50
	s_waitcnt lgkmcnt(4)
	v_mul_f16_sdwa v50, v69, v29 dst_sel:DWORD dst_unused:UNUSED_PAD src0_sel:DWORD src1_sel:WORD_1
	v_fma_f16 v50, v61, v29, -v50
	v_mul_f16_sdwa v61, v61, v29 dst_sel:DWORD dst_unused:UNUSED_PAD src0_sel:DWORD src1_sel:WORD_1
	v_fma_f16 v29, v69, v29, v61
	s_waitcnt vmcnt(3)
	v_mul_f16_sdwa v61, v86, v26 dst_sel:DWORD dst_unused:UNUSED_PAD src0_sel:DWORD src1_sel:WORD_1
	v_fma_f16 v61, v53, v26, -v61
	v_mul_f16_sdwa v53, v53, v26 dst_sel:DWORD dst_unused:UNUSED_PAD src0_sel:DWORD src1_sel:WORD_1
	v_fma_f16 v26, v86, v26, v53
	;; [unrolled: 10-line block ×3, first 2 shown]
	s_waitcnt lgkmcnt(2)
	v_mul_f16_sdwa v51, v75, v19 dst_sel:DWORD dst_unused:UNUSED_PAD src0_sel:DWORD src1_sel:WORD_1
	v_fma_f16 v51, v54, v19, -v51
	v_mul_f16_sdwa v54, v54, v19 dst_sel:DWORD dst_unused:UNUSED_PAD src0_sel:DWORD src1_sel:WORD_1
	v_fma_f16 v19, v75, v19, v54
	v_lshl_add_u32 v68, v68, 1, 0
	s_waitcnt vmcnt(1) lgkmcnt(1)
	v_mul_f16_sdwa v63, v76, v71 dst_sel:DWORD dst_unused:UNUSED_PAD src0_sel:DWORD src1_sel:WORD_1
	v_fma_f16 v63, v52, v71, -v63
	v_mul_f16_sdwa v52, v52, v71 dst_sel:DWORD dst_unused:UNUSED_PAD src0_sel:DWORD src1_sel:WORD_1
	v_mul_f16_sdwa v54, v88, v70 dst_sel:DWORD dst_unused:UNUSED_PAD src0_sel:DWORD src1_sel:WORD_1
	v_fma_f16 v52, v76, v71, v52
	v_mov_b32_e32 v71, 0x708
	v_fma_f16 v54, v47, v70, -v54
	v_mul_f16_sdwa v47, v47, v70 dst_sel:DWORD dst_unused:UNUSED_PAD src0_sel:DWORD src1_sel:WORD_1
	s_waitcnt vmcnt(0)
	v_mul_f16_sdwa v69, v89, v72 dst_sel:DWORD dst_unused:UNUSED_PAD src0_sel:DWORD src1_sel:WORD_1
	v_cndmask_b32_e64 v71, 0, v71, s[0:1]
	v_fma_f16 v47, v88, v70, v47
	v_fma_f16 v69, v46, v72, -v69
	v_mul_f16_sdwa v46, v46, v72 dst_sel:DWORD dst_unused:UNUSED_PAD src0_sel:DWORD src1_sel:WORD_1
	s_waitcnt lgkmcnt(0)
	v_mul_f16_sdwa v70, v82, v73 dst_sel:DWORD dst_unused:UNUSED_PAD src0_sel:DWORD src1_sel:WORD_1
	v_add3_u32 v6, 0, v71, v6
	v_add_f16_e32 v71, v80, v90
	v_fma_f16 v46, v89, v72, v46
	v_fma_f16 v70, v48, v73, -v70
	v_mul_f16_sdwa v48, v48, v73 dst_sel:DWORD dst_unused:UNUSED_PAD src0_sel:DWORD src1_sel:WORD_1
	v_fma_f16 v71, v71, -0.5, v45
	v_sub_f16_e32 v72, v8, v9
	v_fma_f16 v48, v82, v73, v48
	v_fma_f16 v73, v72, s4, v71
	v_fma_f16 v71, v72, s5, v71
	ds_read_u16 v72, v31
	ds_read_u16 v74, v31 offset:180
	ds_read_u16 v75, v31 offset:360
	ds_read_u16 v76, v31 offset:540
	ds_read_u16 v77, v31 offset:720
	ds_read_u16 v82, v31 offset:900
	ds_read_u16 v84, v31 offset:1080
	ds_read_u16 v85, v31 offset:1260
	s_waitcnt lgkmcnt(7)
	v_add_f16_e32 v86, v72, v8
	v_add_f16_e32 v8, v8, v9
	;; [unrolled: 1-line block ×3, first 2 shown]
	v_fma_f16 v8, v8, -0.5, v72
	v_add_f16_e32 v9, v45, v80
	v_sub_f16_e32 v45, v80, v90
	v_fma_f16 v72, v45, s5, v8
	v_fma_f16 v80, v45, s4, v8
	v_add_f16_e32 v8, v66, v64
	v_fma_f16 v8, v8, -0.5, v44
	v_sub_f16_e32 v45, v10, v11
	v_fma_f16 v87, v45, s4, v8
	v_fma_f16 v8, v45, s5, v8
	s_waitcnt lgkmcnt(6)
	v_add_f16_e32 v45, v74, v10
	v_add_f16_e32 v10, v10, v11
	v_add_f16_e32 v88, v45, v11
	v_fma_f16 v10, v10, -0.5, v74
	v_add_f16_e32 v11, v44, v66
	v_sub_f16_e32 v44, v66, v64
	v_add_f16_e32 v11, v11, v64
	v_fma_f16 v64, v44, s5, v10
	v_fma_f16 v66, v44, s4, v10
	v_add_f16_e32 v10, v65, v62
	v_fma_f16 v10, v10, -0.5, v43
	v_sub_f16_e32 v44, v14, v15
	v_fma_f16 v45, v44, s4, v10
	v_fma_f16 v10, v44, s5, v10
	s_waitcnt lgkmcnt(5)
	v_add_f16_e32 v44, v75, v14
	v_add_f16_e32 v14, v14, v15
	v_add_f16_e32 v74, v44, v15
	v_fma_f16 v14, v14, -0.5, v75
	v_add_f16_e32 v15, v43, v65
	v_sub_f16_e32 v43, v65, v62
	v_add_f16_e32 v15, v15, v62
	;; [unrolled: 15-line block ×3, first 2 shown]
	v_fma_f16 v58, v42, s5, v12
	v_fma_f16 v60, v42, s4, v12
	v_add_f16_e32 v12, v55, v83
	v_fma_f16 v12, v12, -0.5, v41
	v_sub_f16_e32 v42, v16, v17
	v_fma_f16 v43, v42, s4, v12
	v_fma_f16 v12, v42, s5, v12
	s_waitcnt lgkmcnt(3)
	v_add_f16_e32 v42, v77, v16
	v_add_f16_e32 v16, v16, v17
	;; [unrolled: 1-line block ×3, first 2 shown]
	v_fma_f16 v16, v16, -0.5, v77
	v_add_f16_e32 v17, v41, v55
	v_sub_f16_e32 v41, v55, v83
	v_fma_f16 v55, v41, s5, v16
	v_fma_f16 v77, v41, s4, v16
	v_add_f16_e32 v16, v56, v50
	v_fma_f16 v16, v16, -0.5, v39
	v_sub_f16_e32 v41, v28, v29
	v_fma_f16 v42, v41, s4, v16
	v_fma_f16 v16, v41, s5, v16
	s_waitcnt lgkmcnt(2)
	v_add_f16_e32 v41, v82, v28
	v_add_f16_e32 v28, v28, v29
	;; [unrolled: 1-line block ×4, first 2 shown]
	v_fma_f16 v28, v28, -0.5, v82
	v_add_f16_e32 v29, v39, v56
	v_sub_f16_e32 v39, v56, v50
	v_add_f16_e32 v29, v29, v50
	v_fma_f16 v50, v39, s5, v28
	v_fma_f16 v56, v39, s4, v28
	v_add_f16_e32 v28, v61, v53
	v_fma_f16 v28, v28, -0.5, v38
	v_sub_f16_e32 v39, v26, v27
	v_fma_f16 v41, v39, s4, v28
	v_fma_f16 v28, v39, s5, v28
	s_waitcnt lgkmcnt(1)
	v_add_f16_e32 v39, v84, v26
	v_add_f16_e32 v26, v26, v27
	;; [unrolled: 1-line block ×3, first 2 shown]
	v_fma_f16 v26, v26, -0.5, v84
	v_add_f16_e32 v27, v38, v61
	v_sub_f16_e32 v38, v61, v53
	v_add_f16_e32 v27, v27, v53
	v_fma_f16 v53, v38, s5, v26
	v_fma_f16 v61, v38, s4, v26
	v_add_f16_e32 v26, v59, v51
	v_fma_f16 v26, v26, -0.5, v37
	v_sub_f16_e32 v38, v18, v19
	v_fma_f16 v39, v38, s4, v26
	v_fma_f16 v26, v38, s5, v26
	s_waitcnt lgkmcnt(0)
	v_add_f16_e32 v38, v85, v18
	v_add_f16_e32 v18, v18, v19
	;; [unrolled: 1-line block ×3, first 2 shown]
	v_fma_f16 v18, v18, -0.5, v85
	v_add_f16_e32 v19, v37, v59
	v_sub_f16_e32 v37, v59, v51
	v_add_f16_e32 v19, v19, v51
	v_fma_f16 v51, v37, s5, v18
	v_fma_f16 v59, v37, s4, v18
	v_add_f16_e32 v18, v54, v63
	v_fma_f16 v18, v18, -0.5, v36
	v_sub_f16_e32 v37, v47, v52
	v_fma_f16 v38, v37, s4, v18
	v_fma_f16 v18, v37, s5, v18
	v_add_f16_e32 v37, v78, v47
	v_add_f16_e32 v85, v37, v52
	;; [unrolled: 1-line block ×3, first 2 shown]
	v_fma_f16 v37, v37, -0.5, v78
	v_sub_f16_e32 v47, v54, v63
	v_add_f16_e32 v36, v36, v54
	v_fma_f16 v52, v47, s5, v37
	v_fma_f16 v54, v47, s4, v37
	v_add_f16_e32 v37, v69, v70
	v_add_f16_e32 v9, v9, v90
	v_fma_f16 v37, v37, -0.5, v35
	v_sub_f16_e32 v47, v46, v48
	v_add_f16_e32 v36, v36, v63
	v_fma_f16 v63, v47, s4, v37
	v_fma_f16 v37, v47, s5, v37
	v_add_f16_e32 v47, v79, v46
	v_add_f16_e32 v46, v46, v48
	;; [unrolled: 1-line block ×3, first 2 shown]
	s_barrier
	ds_write_b16 v31, v9
	ds_write_b16 v31, v73 offset:600
	ds_write_b16 v31, v71 offset:1200
	ds_write_b16 v31, v11 offset:180
	ds_write_b16 v31, v87 offset:780
	ds_write_b16 v31, v8 offset:1380
	ds_write_b16 v31, v15 offset:360
	ds_write_b16 v31, v45 offset:960
	v_lshlrev_b32_e32 v8, 1, v57
	v_mul_u32_u24_e32 v9, 0x708, v49
	v_add_f16_e32 v78, v47, v48
	v_fma_f16 v46, v46, -0.5, v79
	v_add_f16_e32 v35, v35, v70
	v_sub_f16_e32 v47, v69, v70
	v_add3_u32 v57, 0, v9, v8
	v_lshl_add_u32 v71, v81, 1, 0
	v_fma_f16 v69, v47, s5, v46
	v_fma_f16 v70, v47, s4, v46
	ds_write_b16 v31, v10 offset:1560
	ds_write_b16 v6, v13
	ds_write_b16 v6, v44 offset:600
	ds_write_b16 v6, v14 offset:1200
	;; [unrolled: 1-line block ×8, first 2 shown]
	ds_write_b16 v57, v27
	ds_write_b16 v57, v41 offset:600
	ds_write_b16 v57, v28 offset:1200
	;; [unrolled: 1-line block ×11, first 2 shown]
	s_waitcnt lgkmcnt(0)
	s_barrier
	ds_read_u16 v12, v31 offset:3960
	ds_read_u16 v27, v31 offset:4140
	;; [unrolled: 1-line block ×6, first 2 shown]
	ds_read_u16 v8, v31
	ds_read_u16 v9, v31 offset:180
	ds_read_u16 v13, v31 offset:360
	;; [unrolled: 1-line block ×23, first 2 shown]
	s_waitcnt lgkmcnt(0)
	s_barrier
	ds_write_b16 v31, v86
	ds_write_b16 v31, v72 offset:600
	ds_write_b16 v31, v80 offset:1200
	ds_write_b16 v31, v88 offset:180
	ds_write_b16 v31, v64 offset:780
	ds_write_b16 v31, v66 offset:1380
	ds_write_b16 v31, v74 offset:360
	ds_write_b16 v31, v62 offset:960
	ds_write_b16 v31, v65 offset:1560
	ds_write_b16 v6, v75
	ds_write_b16 v6, v58 offset:600
	ds_write_b16 v6, v60 offset:1200
	ds_write_b16 v31, v76 offset:1920
	ds_write_b16 v31, v55 offset:2520
	ds_write_b16 v31, v77 offset:3120
	ds_write_b16 v31, v83 offset:2100
	ds_write_b16 v31, v50 offset:2700
	ds_write_b16 v31, v56 offset:3300
	;; [unrolled: 9-line block ×3, first 2 shown]
	ds_write_b16 v71, v78 offset:3600
	ds_write_b16 v71, v69 offset:4200
	ds_write_b16 v71, v70 offset:4800
	s_waitcnt lgkmcnt(0)
	s_barrier
	s_and_saveexec_b64 s[0:1], vcc
	s_cbranch_execz .LBB0_15
; %bb.14:
	v_lshlrev_b32_e32 v50, 1, v40
	v_mov_b32_e32 v51, v23
	v_lshlrev_b64 v[50:51], 2, v[50:51]
	v_mov_b32_e32 v62, s13
	v_add_co_u32_e32 v50, vcc, s12, v50
	v_lshlrev_b32_e32 v6, 1, v7
	v_mov_b32_e32 v7, v23
	v_addc_co_u32_e32 v51, vcc, v62, v51, vcc
	v_lshlrev_b64 v[6:7], 2, v[6:7]
	global_load_dwordx2 v[50:51], v[50:51], off offset:3588
	v_add_co_u32_e32 v6, vcc, s12, v6
	v_addc_co_u32_e32 v7, vcc, v62, v7, vcc
	global_load_dwordx2 v[52:53], v[6:7], off offset:3588
	v_mul_lo_u32 v40, s3, v24
	v_mul_lo_u32 v56, s2, v25
	v_mad_u64_u32 v[6:7], s[0:1], s2, v24, 0
	v_lshlrev_b32_e32 v24, 1, v34
	v_mov_b32_e32 v25, v23
	v_lshlrev_b64 v[24:25], 2, v[24:25]
	v_mov_b32_e32 v34, v23
	v_add_co_u32_e32 v24, vcc, s12, v24
	v_addc_co_u32_e32 v25, vcc, v62, v25, vcc
	global_load_dwordx2 v[54:55], v[24:25], off offset:3588
	v_lshlrev_b32_e32 v24, 1, v33
	v_mov_b32_e32 v25, v23
	v_lshlrev_b64 v[24:25], 2, v[24:25]
	v_add_u32_e32 v33, 0x384, v22
	v_lshlrev_b64 v[33:34], 2, v[33:34]
	v_add_co_u32_e32 v24, vcc, s12, v24
	v_addc_co_u32_e32 v25, vcc, v62, v25, vcc
	v_add_co_u32_e32 v33, vcc, s12, v33
	ds_read_u16 v63, v31 offset:2700
	ds_read_u16 v64, v31 offset:2520
	ds_read_u16 v65, v31 offset:2340
	ds_read_u16 v66, v31 offset:2160
	ds_read_u16 v67, v31 offset:1980
	ds_read_u16 v68, v31 offset:1800
	ds_read_u16 v69, v31 offset:1620
	ds_read_u16 v70, v31 offset:1440
	ds_read_u16 v71, v31 offset:4140
	ds_read_u16 v72, v31 offset:3960
	ds_read_u16 v73, v31 offset:3780
	ds_read_u16 v74, v31 offset:3600
	ds_read_u16 v75, v31 offset:3420
	ds_read_u16 v76, v31 offset:3240
	ds_read_u16 v77, v31 offset:3060
	v_addc_co_u32_e32 v34, vcc, v62, v34, vcc
	v_add3_u32 v7, v7, v56, v40
	global_load_dwordx2 v[56:57], v[24:25], off offset:3588
	global_load_dwordx2 v[58:59], v[33:34], off offset:3588
	;; [unrolled: 1-line block ×3, first 2 shown]
	ds_read_u16 v4, v31 offset:5220
	ds_read_u16 v33, v31 offset:5040
	v_add_u32_e32 v22, 0x2d0, v22
	s_mov_b32 s0, 0x91a2b3c5
	s_movk_i32 s1, 0x1000
	global_load_dwordx2 v[2:3], v[2:3], off offset:3588
	s_waitcnt vmcnt(6)
	v_lshrrev_b32_e32 v5, 16, v50
	global_load_dwordx2 v[0:1], v[0:1], off offset:3588
	v_lshrrev_b32_e32 v24, 16, v51
	s_waitcnt lgkmcnt(4)
	v_mul_f16_e32 v25, v50, v75
	s_waitcnt lgkmcnt(1)
	v_mul_f16_e32 v34, v51, v4
	v_mul_f16_e32 v75, v5, v75
	;; [unrolled: 1-line block ×3, first 2 shown]
	v_fma_f16 v5, v17, v5, v25
	v_fma_f16 v24, v19, v24, v34
	v_fma_f16 v17, v17, v50, -v75
	v_fma_f16 v25, v19, v51, -v4
	v_add_f16_e32 v19, v5, v69
	s_waitcnt vmcnt(6)
	v_lshrrev_b32_e32 v40, 16, v52
	v_add_f16_e32 v4, v5, v24
	v_sub_f16_e32 v34, v5, v24
	v_add_f16_e32 v19, v24, v19
	v_add_f16_e32 v24, v17, v25
	;; [unrolled: 1-line block ×3, first 2 shown]
	v_lshrrev_b32_e32 v78, 16, v53
	v_sub_f16_e32 v5, v17, v25
	v_fma_f16 v50, v4, -0.5, v69
	v_fma_f16 v18, v24, -0.5, v18
	v_add_f16_e32 v24, v51, v25
	v_mul_f16_e32 v25, v40, v76
	v_fma_f16 v4, v5, s4, v50
	v_fma_f16 v17, v5, s5, v50
	v_fma_f16 v50, v37, v52, -v25
	ds_read_u16 v51, v31 offset:4860
	ds_read_u16 v75, v31 offset:4680
	s_waitcnt lgkmcnt(2)
	v_mul_f16_e32 v25, v78, v33
	v_fma_f16 v69, v39, v53, -v25
	v_mul_f16_e32 v25, v52, v76
	v_fma_f16 v37, v37, v40, v25
	v_mul_f16_e32 v25, v53, v33
	v_fma_f16 v33, v39, v78, v25
	v_add_f16_e32 v25, v37, v33
	v_fma_f16 v5, v34, s5, v18
	v_fma_f16 v18, v34, s4, v18
	v_sub_f16_e32 v34, v50, v69
	v_fma_f16 v39, v25, -0.5, v70
	v_add_f16_e32 v40, v50, v69
	v_fma_f16 v25, v34, s4, v39
	v_fma_f16 v34, v34, s5, v39
	v_add_f16_e32 v39, v37, v70
	v_fma_f16 v40, v40, -0.5, v49
	v_sub_f16_e32 v37, v37, v33
	s_waitcnt vmcnt(5)
	v_lshrrev_b32_e32 v52, 16, v54
	v_add_f16_e32 v39, v33, v39
	v_fma_f16 v33, v37, s5, v40
	v_fma_f16 v37, v37, s4, v40
	v_add_f16_e32 v40, v49, v50
	v_lshrrev_b32_e32 v53, 16, v55
	v_mul_f16_e32 v49, v52, v77
	v_fma_f16 v70, v47, v54, -v49
	s_waitcnt lgkmcnt(1)
	v_mul_f16_e32 v49, v53, v51
	v_fma_f16 v76, v48, v55, -v49
	v_lshlrev_b64 v[49:50], 2, v[22:23]
	v_mul_f16_e32 v22, v54, v77
	v_fma_f16 v22, v47, v52, v22
	ds_read_u16 v47, v31 offset:1260
	ds_read_u16 v52, v31 offset:1080
	v_mul_f16_e32 v51, v55, v51
	v_fma_f16 v48, v48, v53, v51
	v_add_co_u32_e32 v49, vcc, s12, v49
	v_add_f16_e32 v51, v22, v48
	v_addc_co_u32_e32 v50, vcc, v62, v50, vcc
	s_waitcnt lgkmcnt(1)
	v_fma_f16 v51, v51, -0.5, v47
	v_add_f16_e32 v47, v22, v47
	global_load_dwordx2 v[49:50], v[49:50], off offset:3588
	v_add_f16_e32 v54, v48, v47
	v_add_f16_e32 v47, v70, v76
	v_fma_f16 v47, v47, -0.5, v46
	v_sub_f16_e32 v22, v22, v48
	v_fma_f16 v48, v22, s5, v47
	v_fma_f16 v55, v22, s4, v47
	v_add_f16_e32 v22, v46, v70
	v_sub_f16_e32 v78, v70, v76
	v_add_f16_e32 v70, v22, v76
	v_lshlrev_b32_e32 v22, 1, v32
	v_lshlrev_b64 v[46:47], 2, v[22:23]
	v_add_f16_e32 v40, v40, v69
	v_add_co_u32_e32 v46, vcc, s12, v46
	v_addc_co_u32_e32 v47, vcc, v62, v47, vcc
	global_load_dwordx2 v[46:47], v[46:47], off offset:3588
	ds_read_u16 v69, v31 offset:2880
	ds_read_u16 v76, v31 offset:4500
	s_waitcnt vmcnt(6)
	v_lshrrev_b32_e32 v22, 16, v56
	v_lshrrev_b32_e32 v32, 16, v57
	v_mul_f16_e32 v77, v32, v75
	s_waitcnt lgkmcnt(1)
	v_mul_f16_e32 v62, v22, v69
	v_fma_f16 v62, v44, v56, -v62
	v_mul_f16_e32 v56, v56, v69
	v_fma_f16 v22, v44, v22, v56
	v_mul_f16_e32 v44, v57, v75
	v_fma_f16 v77, v45, v57, -v77
	v_fma_f16 v32, v45, v32, v44
	v_add_f16_e32 v44, v22, v32
	v_add_f16_e32 v57, v62, v77
	ds_read_u16 v45, v31 offset:900
	v_fma_f16 v44, v44, -0.5, v52
	v_add_f16_e32 v52, v22, v52
	v_fma_f16 v57, v57, -0.5, v42
	v_sub_f16_e32 v22, v22, v32
	v_add_f16_e32 v52, v32, v52
	v_fma_f16 v32, v22, s5, v57
	v_fma_f16 v57, v22, s4, v57
	v_add_f16_e32 v22, v42, v62
	v_add_f16_e32 v42, v22, v77
	s_waitcnt vmcnt(5)
	v_lshrrev_b32_e32 v22, 16, v58
	v_mul_f16_e32 v69, v22, v63
	v_fma_f16 v53, v78, s4, v51
	v_fma_f16 v51, v78, s5, v51
	v_sub_f16_e32 v78, v62, v77
	v_lshrrev_b32_e32 v62, 16, v59
	v_fma_f16 v69, v41, v58, -v69
	v_mul_f16_e32 v58, v58, v63
	s_waitcnt lgkmcnt(1)
	v_mul_f16_e32 v77, v62, v76
	v_fma_f16 v22, v41, v22, v58
	ds_read_u16 v58, v31 offset:720
	v_mul_f16_e32 v41, v59, v76
	v_fma_f16 v77, v43, v59, -v77
	v_fma_f16 v41, v43, v62, v41
	v_add_f16_e32 v43, v22, v41
	v_add_f16_e32 v62, v69, v77
	ds_read_u16 v75, v31 offset:4320
	s_waitcnt lgkmcnt(2)
	v_fma_f16 v43, v43, -0.5, v45
	v_add_f16_e32 v45, v22, v45
	v_fma_f16 v62, v62, -0.5, v36
	v_sub_f16_e32 v22, v22, v41
	v_add_f16_e32 v45, v41, v45
	v_fma_f16 v41, v22, s5, v62
	v_fma_f16 v62, v22, s4, v62
	v_add_f16_e32 v22, v36, v69
	v_add_f16_e32 v36, v22, v77
	v_fma_f16 v56, v78, s4, v44
	v_fma_f16 v44, v78, s5, v44
	v_sub_f16_e32 v78, v69, v77
	v_fma_f16 v59, v78, s4, v43
	v_fma_f16 v43, v78, s5, v43
	s_waitcnt vmcnt(1)
	v_lshrrev_b32_e32 v22, 16, v49
	v_mul_f16_e32 v69, v22, v64
	v_lshrrev_b32_e32 v63, 16, v50
	v_fma_f16 v69, v35, v49, -v69
	v_mul_f16_e32 v49, v49, v64
	s_waitcnt lgkmcnt(0)
	v_mul_f16_e32 v76, v63, v75
	v_fma_f16 v22, v35, v22, v49
	ds_read_u16 v49, v31 offset:540
	v_mul_f16_e32 v35, v50, v75
	v_fma_f16 v76, v38, v50, -v76
	v_fma_f16 v35, v38, v63, v35
	v_add_f16_e32 v38, v22, v35
	v_add_f16_e32 v63, v69, v76
	v_fma_f16 v38, v38, -0.5, v58
	v_add_f16_e32 v58, v22, v58
	v_fma_f16 v63, v63, -0.5, v29
	v_sub_f16_e32 v22, v22, v35
	v_add_f16_e32 v58, v35, v58
	v_fma_f16 v35, v22, s5, v63
	v_fma_f16 v63, v22, s4, v63
	v_add_f16_e32 v22, v29, v69
	v_add_f16_e32 v29, v22, v76
	s_waitcnt vmcnt(0)
	v_lshrrev_b32_e32 v22, 16, v46
	v_sub_f16_e32 v77, v69, v76
	v_mul_f16_e32 v69, v22, v65
	v_lshrrev_b32_e32 v64, 16, v47
	v_fma_f16 v69, v28, v46, -v69
	v_mul_f16_e32 v46, v46, v65
	v_mul_f16_e32 v75, v64, v71
	v_fma_f16 v22, v28, v22, v46
	ds_read_u16 v46, v31 offset:360
	v_mul_f16_e32 v28, v47, v71
	v_fma_f16 v75, v27, v47, -v75
	v_fma_f16 v27, v27, v64, v28
	v_add_f16_e32 v28, v22, v27
	v_add_f16_e32 v64, v69, v75
	s_waitcnt lgkmcnt(1)
	v_fma_f16 v28, v28, -0.5, v49
	v_add_f16_e32 v49, v22, v49
	v_fma_f16 v64, v64, -0.5, v26
	v_sub_f16_e32 v22, v22, v27
	v_add_f16_e32 v49, v27, v49
	v_fma_f16 v27, v22, s5, v64
	v_fma_f16 v64, v22, s4, v64
	v_add_f16_e32 v22, v26, v69
	v_add_f16_e32 v26, v22, v75
	v_lshrrev_b32_e32 v22, 16, v60
	v_sub_f16_e32 v76, v69, v75
	v_mul_f16_e32 v69, v22, v66
	v_lshrrev_b32_e32 v65, 16, v61
	v_fma_f16 v69, v15, v60, -v69
	v_mul_f16_e32 v60, v60, v66
	v_mul_f16_e32 v71, v65, v72
	v_fma_f16 v15, v15, v22, v60
	ds_read_u16 v60, v31 offset:180
	v_mul_f16_e32 v22, v61, v72
	v_fma_f16 v71, v12, v61, -v71
	v_fma_f16 v12, v12, v65, v22
	v_add_f16_e32 v22, v15, v12
	v_sub_f16_e32 v75, v69, v71
	s_waitcnt lgkmcnt(1)
	v_fma_f16 v22, v22, -0.5, v46
	v_fma_f16 v61, v75, s4, v22
	v_fma_f16 v65, v75, s5, v22
	v_add_f16_e32 v22, v15, v46
	v_add_f16_e32 v46, v12, v22
	v_add_f16_e32 v22, v69, v71
	v_fma_f16 v22, v22, -0.5, v13
	v_sub_f16_e32 v12, v15, v12
	v_fma_f16 v15, v12, s5, v22
	v_fma_f16 v12, v12, s4, v22
	v_add_f16_e32 v13, v13, v69
	v_lshrrev_b32_e32 v22, 16, v2
	v_lshrrev_b32_e32 v66, 16, v3
	v_add_f16_e32 v13, v13, v71
	v_mul_f16_e32 v69, v22, v67
	v_mul_f16_e32 v71, v66, v73
	v_fma_f16 v69, v14, v2, -v69
	v_fma_f16 v71, v16, v3, -v71
	v_mul_f16_e32 v2, v2, v67
	v_mul_f16_e32 v3, v3, v73
	v_fma_f16 v2, v14, v22, v2
	v_fma_f16 v3, v16, v66, v3
	ds_read_u16 v16, v31
	v_add_f16_e32 v14, v2, v3
	s_waitcnt lgkmcnt(1)
	v_add_f16_e32 v22, v2, v60
	v_fma_f16 v14, v14, -0.5, v60
	v_add_f16_e32 v60, v3, v22
	v_add_f16_e32 v22, v69, v71
	v_fma_f16 v22, v22, -0.5, v9
	v_sub_f16_e32 v2, v2, v3
	v_fma_f16 v3, v2, s5, v22
	v_fma_f16 v2, v2, s4, v22
	v_lshrrev_b32_e32 v22, 16, v0
	v_lshrrev_b32_e32 v66, 16, v1
	v_sub_f16_e32 v72, v69, v71
	v_add_f16_e32 v9, v9, v69
	v_mul_f16_e32 v67, v22, v68
	v_mul_f16_e32 v69, v66, v74
	v_fma_f16 v67, v10, v0, -v67
	v_fma_f16 v69, v11, v1, -v69
	v_mul_f16_e32 v0, v0, v68
	v_mul_f16_e32 v1, v1, v74
	v_fma_f16 v0, v10, v22, v0
	v_fma_f16 v1, v11, v66, v1
	v_add_f16_e32 v10, v0, v1
	s_waitcnt lgkmcnt(0)
	v_fma_f16 v10, v10, -0.5, v16
	v_add_f16_e32 v16, v0, v16
	v_add_f16_e32 v16, v1, v16
	v_sub_f16_e32 v0, v0, v1
	v_mul_hi_u32 v1, v30, s0
	v_add_f16_e32 v22, v67, v69
	v_fma_f16 v22, v22, -0.5, v8
	v_fma_f16 v66, v0, s5, v22
	v_fma_f16 v22, v0, s4, v22
	v_add_f16_e32 v0, v8, v67
	v_add_f16_e32 v8, v0, v69
	v_lshrrev_b32_e32 v0, 9, v1
	v_mul_u32_u24_e32 v0, 0x384, v0
	v_add_f16_e32 v9, v9, v71
	v_sub_f16_e32 v71, v67, v69
	v_sub_u32_e32 v67, v30, v0
	v_lshlrev_b64 v[0:1], 2, v[6:7]
	v_mov_b32_e32 v6, s11
	v_add_co_u32_e32 v7, vcc, s10, v0
	v_addc_co_u32_e32 v6, vcc, v6, v1, vcc
	v_lshlrev_b64 v[0:1], 2, v[20:21]
	v_fma_f16 v11, v71, s4, v10
	v_add_co_u32_e32 v7, vcc, v7, v0
	v_addc_co_u32_e32 v6, vcc, v6, v1, vcc
	v_lshlrev_b32_e32 v0, 2, v67
	v_add_co_u32_e32 v0, vcc, v7, v0
	v_fma_f16 v10, v71, s5, v10
	v_addc_co_u32_e32 v1, vcc, 0, v6, vcc
	v_pack_b32_f16 v8, v8, v16
	global_store_dword v[0:1], v8, off
	v_pack_b32_f16 v8, v22, v10
	v_add_u32_e32 v10, 0x5a, v30
	global_store_dword v[0:1], v8, off offset:3600
	v_pack_b32_f16 v8, v66, v11
	v_mul_hi_u32 v11, v10, s0
	v_add_co_u32_e32 v0, vcc, s1, v0
	v_addc_co_u32_e32 v1, vcc, 0, v1, vcc
	global_store_dword v[0:1], v8, off offset:3104
	v_lshrrev_b32_e32 v0, 9, v11
	v_mul_u32_u24_e32 v1, 0x384, v0
	v_sub_u32_e32 v1, v10, v1
	s_movk_i32 s1, 0xa8c
	v_mad_u32_u24 v22, v0, s1, v1
	v_lshlrev_b64 v[0:1], 2, v[22:23]
	v_pack_b32_f16 v8, v9, v60
	v_add_co_u32_e32 v0, vcc, v7, v0
	v_addc_co_u32_e32 v1, vcc, v6, v1, vcc
	global_store_dword v[0:1], v8, off
	v_add_u32_e32 v0, 0x384, v22
	v_mov_b32_e32 v1, v23
	v_lshlrev_b64 v[0:1], 2, v[0:1]
	v_fma_f16 v31, v72, s4, v14
	v_fma_f16 v14, v72, s5, v14
	v_add_co_u32_e32 v0, vcc, v7, v0
	v_addc_co_u32_e32 v1, vcc, v6, v1, vcc
	v_pack_b32_f16 v2, v2, v14
	global_store_dword v[0:1], v2, off
	v_add_u32_e32 v22, 0x708, v22
	v_add_u32_e32 v2, 0xb4, v30
	v_lshlrev_b64 v[0:1], 2, v[22:23]
	v_mul_hi_u32 v8, v2, s0
	v_add_co_u32_e32 v0, vcc, v7, v0
	v_addc_co_u32_e32 v1, vcc, v6, v1, vcc
	v_pack_b32_f16 v3, v3, v31
	global_store_dword v[0:1], v3, off
	v_lshrrev_b32_e32 v0, 9, v8
	v_mul_u32_u24_e32 v1, 0x384, v0
	v_sub_u32_e32 v1, v2, v1
	v_mad_u32_u24 v22, v0, s1, v1
	v_lshlrev_b64 v[0:1], 2, v[22:23]
	v_pack_b32_f16 v2, v13, v46
	v_add_co_u32_e32 v0, vcc, v7, v0
	v_addc_co_u32_e32 v1, vcc, v6, v1, vcc
	global_store_dword v[0:1], v2, off
	v_add_u32_e32 v0, 0x384, v22
	v_mov_b32_e32 v1, v23
	v_lshlrev_b64 v[0:1], 2, v[0:1]
	v_pack_b32_f16 v2, v12, v65
	v_add_co_u32_e32 v0, vcc, v7, v0
	v_addc_co_u32_e32 v1, vcc, v6, v1, vcc
	global_store_dword v[0:1], v2, off
	v_add_u32_e32 v22, 0x708, v22
	v_add_u32_e32 v2, 0x10e, v30
	v_lshlrev_b64 v[0:1], 2, v[22:23]
	v_mul_hi_u32 v3, v2, s0
	v_add_co_u32_e32 v0, vcc, v7, v0
	v_addc_co_u32_e32 v1, vcc, v6, v1, vcc
	v_pack_b32_f16 v8, v15, v61
	global_store_dword v[0:1], v8, off
	v_lshrrev_b32_e32 v0, 9, v3
	v_mul_u32_u24_e32 v1, 0x384, v0
	v_sub_u32_e32 v1, v2, v1
	v_mad_u32_u24 v22, v0, s1, v1
	v_lshlrev_b64 v[0:1], 2, v[22:23]
	v_pack_b32_f16 v2, v26, v49
	v_add_co_u32_e32 v0, vcc, v7, v0
	v_addc_co_u32_e32 v1, vcc, v6, v1, vcc
	global_store_dword v[0:1], v2, off
	v_add_u32_e32 v0, 0x384, v22
	v_mov_b32_e32 v1, v23
	v_lshlrev_b64 v[0:1], 2, v[0:1]
	v_fma_f16 v47, v76, s4, v28
	v_fma_f16 v28, v76, s5, v28
	v_add_co_u32_e32 v0, vcc, v7, v0
	v_addc_co_u32_e32 v1, vcc, v6, v1, vcc
	v_pack_b32_f16 v2, v64, v28
	global_store_dword v[0:1], v2, off
	v_add_u32_e32 v22, 0x708, v22
	v_add_u32_e32 v2, 0x168, v30
	v_lshlrev_b64 v[0:1], 2, v[22:23]
	v_mul_hi_u32 v3, v2, s0
	v_add_co_u32_e32 v0, vcc, v7, v0
	v_addc_co_u32_e32 v1, vcc, v6, v1, vcc
	v_pack_b32_f16 v8, v27, v47
	global_store_dword v[0:1], v8, off
	v_lshrrev_b32_e32 v0, 9, v3
	v_mul_u32_u24_e32 v1, 0x384, v0
	v_sub_u32_e32 v1, v2, v1
	v_mad_u32_u24 v22, v0, s1, v1
	v_lshlrev_b64 v[0:1], 2, v[22:23]
	v_pack_b32_f16 v2, v29, v58
	v_add_co_u32_e32 v0, vcc, v7, v0
	v_addc_co_u32_e32 v1, vcc, v6, v1, vcc
	global_store_dword v[0:1], v2, off
	v_add_u32_e32 v0, 0x384, v22
	v_mov_b32_e32 v1, v23
	v_lshlrev_b64 v[0:1], 2, v[0:1]
	v_fma_f16 v50, v77, s4, v38
	v_fma_f16 v38, v77, s5, v38
	v_add_co_u32_e32 v0, vcc, v7, v0
	v_addc_co_u32_e32 v1, vcc, v6, v1, vcc
	v_pack_b32_f16 v2, v63, v38
	global_store_dword v[0:1], v2, off
	v_add_u32_e32 v22, 0x708, v22
	v_add_u32_e32 v2, 0x1c2, v30
	v_lshlrev_b64 v[0:1], 2, v[22:23]
	v_mul_hi_u32 v3, v2, s0
	v_add_co_u32_e32 v0, vcc, v7, v0
	v_addc_co_u32_e32 v1, vcc, v6, v1, vcc
	v_pack_b32_f16 v8, v35, v50
	global_store_dword v[0:1], v8, off
	v_lshrrev_b32_e32 v0, 9, v3
	v_mul_u32_u24_e32 v1, 0x384, v0
	v_sub_u32_e32 v1, v2, v1
	v_mad_u32_u24 v22, v0, s1, v1
	v_lshlrev_b64 v[0:1], 2, v[22:23]
	v_pack_b32_f16 v2, v36, v45
	v_add_co_u32_e32 v0, vcc, v7, v0
	v_addc_co_u32_e32 v1, vcc, v6, v1, vcc
	global_store_dword v[0:1], v2, off
	v_add_u32_e32 v0, 0x384, v22
	v_mov_b32_e32 v1, v23
	v_lshlrev_b64 v[0:1], 2, v[0:1]
	v_pack_b32_f16 v2, v62, v43
	v_add_co_u32_e32 v0, vcc, v7, v0
	v_addc_co_u32_e32 v1, vcc, v6, v1, vcc
	global_store_dword v[0:1], v2, off
	v_add_u32_e32 v22, 0x708, v22
	v_add_u32_e32 v2, 0x21c, v30
	v_lshlrev_b64 v[0:1], 2, v[22:23]
	v_mul_hi_u32 v3, v2, s0
	v_add_co_u32_e32 v0, vcc, v7, v0
	v_addc_co_u32_e32 v1, vcc, v6, v1, vcc
	v_pack_b32_f16 v8, v41, v59
	global_store_dword v[0:1], v8, off
	v_lshrrev_b32_e32 v0, 9, v3
	v_mul_u32_u24_e32 v1, 0x384, v0
	v_sub_u32_e32 v1, v2, v1
	v_mad_u32_u24 v22, v0, s1, v1
	v_lshlrev_b64 v[0:1], 2, v[22:23]
	v_pack_b32_f16 v2, v42, v52
	v_add_co_u32_e32 v0, vcc, v7, v0
	v_addc_co_u32_e32 v1, vcc, v6, v1, vcc
	global_store_dword v[0:1], v2, off
	v_add_u32_e32 v0, 0x384, v22
	v_mov_b32_e32 v1, v23
	v_lshlrev_b64 v[0:1], 2, v[0:1]
	v_pack_b32_f16 v2, v57, v44
	v_add_co_u32_e32 v0, vcc, v7, v0
	v_addc_co_u32_e32 v1, vcc, v6, v1, vcc
	;; [unrolled: 24-line block ×5, first 2 shown]
	v_add_u32_e32 v22, 0x708, v22
	global_store_dword v[0:1], v2, off
	v_lshlrev_b64 v[0:1], 2, v[22:23]
	v_pack_b32_f16 v2, v5, v4
	v_add_co_u32_e32 v0, vcc, v7, v0
	v_addc_co_u32_e32 v1, vcc, v6, v1, vcc
	global_store_dword v[0:1], v2, off
.LBB0_15:
	s_endpgm
	.section	.rodata,"a",@progbits
	.p2align	6, 0x0
	.amdhsa_kernel fft_rtc_fwd_len2700_factors_3_10_10_3_3_wgs_90_tpt_90_halfLds_half_op_CI_CI_unitstride_sbrr_dirReg
		.amdhsa_group_segment_fixed_size 0
		.amdhsa_private_segment_fixed_size 0
		.amdhsa_kernarg_size 104
		.amdhsa_user_sgpr_count 6
		.amdhsa_user_sgpr_private_segment_buffer 1
		.amdhsa_user_sgpr_dispatch_ptr 0
		.amdhsa_user_sgpr_queue_ptr 0
		.amdhsa_user_sgpr_kernarg_segment_ptr 1
		.amdhsa_user_sgpr_dispatch_id 0
		.amdhsa_user_sgpr_flat_scratch_init 0
		.amdhsa_user_sgpr_private_segment_size 0
		.amdhsa_uses_dynamic_stack 0
		.amdhsa_system_sgpr_private_segment_wavefront_offset 0
		.amdhsa_system_sgpr_workgroup_id_x 1
		.amdhsa_system_sgpr_workgroup_id_y 0
		.amdhsa_system_sgpr_workgroup_id_z 0
		.amdhsa_system_sgpr_workgroup_info 0
		.amdhsa_system_vgpr_workitem_id 0
		.amdhsa_next_free_vgpr 97
		.amdhsa_next_free_sgpr 28
		.amdhsa_reserve_vcc 1
		.amdhsa_reserve_flat_scratch 0
		.amdhsa_float_round_mode_32 0
		.amdhsa_float_round_mode_16_64 0
		.amdhsa_float_denorm_mode_32 3
		.amdhsa_float_denorm_mode_16_64 3
		.amdhsa_dx10_clamp 1
		.amdhsa_ieee_mode 1
		.amdhsa_fp16_overflow 0
		.amdhsa_exception_fp_ieee_invalid_op 0
		.amdhsa_exception_fp_denorm_src 0
		.amdhsa_exception_fp_ieee_div_zero 0
		.amdhsa_exception_fp_ieee_overflow 0
		.amdhsa_exception_fp_ieee_underflow 0
		.amdhsa_exception_fp_ieee_inexact 0
		.amdhsa_exception_int_div_zero 0
	.end_amdhsa_kernel
	.text
.Lfunc_end0:
	.size	fft_rtc_fwd_len2700_factors_3_10_10_3_3_wgs_90_tpt_90_halfLds_half_op_CI_CI_unitstride_sbrr_dirReg, .Lfunc_end0-fft_rtc_fwd_len2700_factors_3_10_10_3_3_wgs_90_tpt_90_halfLds_half_op_CI_CI_unitstride_sbrr_dirReg
                                        ; -- End function
	.section	.AMDGPU.csdata,"",@progbits
; Kernel info:
; codeLenInByte = 19640
; NumSgprs: 32
; NumVgprs: 97
; ScratchSize: 0
; MemoryBound: 0
; FloatMode: 240
; IeeeMode: 1
; LDSByteSize: 0 bytes/workgroup (compile time only)
; SGPRBlocks: 3
; VGPRBlocks: 24
; NumSGPRsForWavesPerEU: 32
; NumVGPRsForWavesPerEU: 97
; Occupancy: 2
; WaveLimiterHint : 1
; COMPUTE_PGM_RSRC2:SCRATCH_EN: 0
; COMPUTE_PGM_RSRC2:USER_SGPR: 6
; COMPUTE_PGM_RSRC2:TRAP_HANDLER: 0
; COMPUTE_PGM_RSRC2:TGID_X_EN: 1
; COMPUTE_PGM_RSRC2:TGID_Y_EN: 0
; COMPUTE_PGM_RSRC2:TGID_Z_EN: 0
; COMPUTE_PGM_RSRC2:TIDIG_COMP_CNT: 0
	.type	__hip_cuid_de31c751fe23736f,@object ; @__hip_cuid_de31c751fe23736f
	.section	.bss,"aw",@nobits
	.globl	__hip_cuid_de31c751fe23736f
__hip_cuid_de31c751fe23736f:
	.byte	0                               ; 0x0
	.size	__hip_cuid_de31c751fe23736f, 1

	.ident	"AMD clang version 19.0.0git (https://github.com/RadeonOpenCompute/llvm-project roc-6.4.0 25133 c7fe45cf4b819c5991fe208aaa96edf142730f1d)"
	.section	".note.GNU-stack","",@progbits
	.addrsig
	.addrsig_sym __hip_cuid_de31c751fe23736f
	.amdgpu_metadata
---
amdhsa.kernels:
  - .args:
      - .actual_access:  read_only
        .address_space:  global
        .offset:         0
        .size:           8
        .value_kind:     global_buffer
      - .offset:         8
        .size:           8
        .value_kind:     by_value
      - .actual_access:  read_only
        .address_space:  global
        .offset:         16
        .size:           8
        .value_kind:     global_buffer
      - .actual_access:  read_only
        .address_space:  global
        .offset:         24
        .size:           8
        .value_kind:     global_buffer
      - .actual_access:  read_only
        .address_space:  global
        .offset:         32
        .size:           8
        .value_kind:     global_buffer
      - .offset:         40
        .size:           8
        .value_kind:     by_value
      - .actual_access:  read_only
        .address_space:  global
        .offset:         48
        .size:           8
        .value_kind:     global_buffer
      - .actual_access:  read_only
        .address_space:  global
        .offset:         56
        .size:           8
        .value_kind:     global_buffer
      - .offset:         64
        .size:           4
        .value_kind:     by_value
      - .actual_access:  read_only
        .address_space:  global
        .offset:         72
        .size:           8
        .value_kind:     global_buffer
      - .actual_access:  read_only
        .address_space:  global
        .offset:         80
        .size:           8
        .value_kind:     global_buffer
      - .actual_access:  read_only
        .address_space:  global
        .offset:         88
        .size:           8
        .value_kind:     global_buffer
      - .actual_access:  write_only
        .address_space:  global
        .offset:         96
        .size:           8
        .value_kind:     global_buffer
    .group_segment_fixed_size: 0
    .kernarg_segment_align: 8
    .kernarg_segment_size: 104
    .language:       OpenCL C
    .language_version:
      - 2
      - 0
    .max_flat_workgroup_size: 90
    .name:           fft_rtc_fwd_len2700_factors_3_10_10_3_3_wgs_90_tpt_90_halfLds_half_op_CI_CI_unitstride_sbrr_dirReg
    .private_segment_fixed_size: 0
    .sgpr_count:     32
    .sgpr_spill_count: 0
    .symbol:         fft_rtc_fwd_len2700_factors_3_10_10_3_3_wgs_90_tpt_90_halfLds_half_op_CI_CI_unitstride_sbrr_dirReg.kd
    .uniform_work_group_size: 1
    .uses_dynamic_stack: false
    .vgpr_count:     97
    .vgpr_spill_count: 0
    .wavefront_size: 64
amdhsa.target:   amdgcn-amd-amdhsa--gfx906
amdhsa.version:
  - 1
  - 2
...

	.end_amdgpu_metadata
